;; amdgpu-corpus repo=ROCm/rocFFT kind=compiled arch=gfx906 opt=O3
	.text
	.amdgcn_target "amdgcn-amd-amdhsa--gfx906"
	.amdhsa_code_object_version 6
	.protected	bluestein_single_fwd_len1225_dim1_half_op_CI_CI ; -- Begin function bluestein_single_fwd_len1225_dim1_half_op_CI_CI
	.globl	bluestein_single_fwd_len1225_dim1_half_op_CI_CI
	.p2align	8
	.type	bluestein_single_fwd_len1225_dim1_half_op_CI_CI,@function
bluestein_single_fwd_len1225_dim1_half_op_CI_CI: ; @bluestein_single_fwd_len1225_dim1_half_op_CI_CI
; %bb.0:
	s_load_dwordx4 s[8:11], s[4:5], 0x28
	v_mul_u32_u24_e32 v1, 0x177, v0
	v_add_u32_sdwa v18, s6, v1 dst_sel:DWORD dst_unused:UNUSED_PAD src0_sel:DWORD src1_sel:WORD_1
	v_mov_b32_e32 v19, 0
	s_waitcnt lgkmcnt(0)
	v_cmp_gt_u64_e32 vcc, s[8:9], v[18:19]
	s_and_saveexec_b64 s[0:1], vcc
	s_cbranch_execz .LBB0_23
; %bb.1:
	s_load_dwordx4 s[0:3], s[4:5], 0x18
	s_load_dwordx2 s[16:17], s[4:5], 0x0
	s_load_dwordx2 s[6:7], s[4:5], 0x38
	s_waitcnt lgkmcnt(0)
	v_mov_b32_e32 v8, s17
	s_load_dwordx4 s[12:15], s[0:1], 0x0
	s_movk_i32 s0, 0xaf
	v_mul_lo_u16_sdwa v1, v1, s0 dst_sel:DWORD dst_unused:UNUSED_PAD src0_sel:WORD_1 src1_sel:DWORD
	v_sub_u16_e32 v40, v0, v1
	v_lshlrev_b32_e32 v35, 2, v40
	s_waitcnt lgkmcnt(0)
	v_mad_u64_u32 v[0:1], s[0:1], s14, v18, 0
	v_mad_u64_u32 v[2:3], s[0:1], s12, v40, 0
	global_load_dword v41, v35, s[16:17]
	v_mad_u64_u32 v[4:5], s[0:1], s15, v18, v[1:2]
	v_mad_u64_u32 v[5:6], s[0:1], s13, v40, v[3:4]
	v_mov_b32_e32 v1, v4
	v_lshlrev_b64 v[0:1], 2, v[0:1]
	v_mov_b32_e32 v6, s11
	v_mov_b32_e32 v3, v5
	v_add_co_u32_e32 v4, vcc, s10, v0
	v_addc_co_u32_e32 v5, vcc, v6, v1, vcc
	v_lshlrev_b64 v[0:1], 2, v[2:3]
	s_mul_i32 s0, s13, 0xf5
	s_mul_hi_u32 s1, s12, 0xf5
	v_add_co_u32_e32 v0, vcc, v4, v0
	s_add_i32 s1, s1, s0
	s_mul_i32 s0, s12, 0xf5
	v_addc_co_u32_e32 v1, vcc, v5, v1, vcc
	s_lshl_b64 s[14:15], s[0:1], 2
	global_load_dword v3, v[0:1], off
	v_mov_b32_e32 v2, s15
	v_add_co_u32_e32 v0, vcc, s14, v0
	v_addc_co_u32_e32 v1, vcc, v1, v2, vcc
	global_load_dword v4, v[0:1], off
	global_load_dword v39, v35, s[16:17] offset:980
	v_add_co_u32_e32 v0, vcc, s14, v0
	v_addc_co_u32_e32 v1, vcc, v1, v2, vcc
	global_load_dword v5, v[0:1], off
	global_load_dword v38, v35, s[16:17] offset:1960
	;; [unrolled: 4-line block ×4, first 2 shown]
	s_load_dwordx4 s[8:11], s[2:3], 0x0
	v_add_co_u32_e64 v16, s[2:3], s16, v35
	v_addc_co_u32_e64 v17, vcc, 0, v8, s[2:3]
	s_movk_i32 s0, 0x46
	v_add_u32_e32 v2, 0x780, v35
	v_cmp_gt_u16_e64 s[0:1], s0, v40
	s_waitcnt vmcnt(8)
	v_lshrrev_b32_e32 v8, 16, v3
	v_mul_f16_sdwa v9, v41, v3 dst_sel:DWORD dst_unused:UNUSED_PAD src0_sel:WORD_1 src1_sel:DWORD
	v_fma_f16 v9, v41, v8, -v9
	v_mul_f16_sdwa v8, v41, v8 dst_sel:DWORD dst_unused:UNUSED_PAD src0_sel:WORD_1 src1_sel:DWORD
	v_fma_f16 v3, v41, v3, v8
	s_waitcnt vmcnt(7)
	v_lshrrev_b32_e32 v10, 16, v4
	s_waitcnt vmcnt(6)
	v_mul_f16_sdwa v11, v39, v4 dst_sel:DWORD dst_unused:UNUSED_PAD src0_sel:WORD_1 src1_sel:DWORD
	v_fma_f16 v8, v39, v10, -v11
	v_mul_f16_sdwa v10, v39, v10 dst_sel:DWORD dst_unused:UNUSED_PAD src0_sel:WORD_1 src1_sel:DWORD
	v_pack_b32_f16 v3, v3, v9
	s_waitcnt vmcnt(5)
	v_lshrrev_b32_e32 v11, 16, v5
	s_waitcnt vmcnt(4)
	v_mul_f16_sdwa v12, v38, v5 dst_sel:DWORD dst_unused:UNUSED_PAD src0_sel:WORD_1 src1_sel:DWORD
	v_fma_f16 v4, v39, v4, v10
	v_mul_f16_sdwa v9, v38, v11 dst_sel:DWORD dst_unused:UNUSED_PAD src0_sel:WORD_1 src1_sel:DWORD
	v_fma_f16 v10, v38, v11, -v12
	s_waitcnt vmcnt(3)
	v_lshrrev_b32_e32 v11, 16, v6
	s_waitcnt vmcnt(2)
	v_mul_f16_sdwa v12, v37, v6 dst_sel:DWORD dst_unused:UNUSED_PAD src0_sel:WORD_1 src1_sel:DWORD
	v_pack_b32_f16 v4, v4, v8
	v_fma_f16 v5, v38, v5, v9
	v_fma_f16 v8, v37, v11, -v12
	v_mul_f16_sdwa v9, v37, v11 dst_sel:DWORD dst_unused:UNUSED_PAD src0_sel:WORD_1 src1_sel:DWORD
	s_waitcnt vmcnt(1)
	v_lshrrev_b32_e32 v11, 16, v7
	s_waitcnt vmcnt(0)
	v_mul_f16_sdwa v12, v36, v7 dst_sel:DWORD dst_unused:UNUSED_PAD src0_sel:WORD_1 src1_sel:DWORD
	ds_write2_b32 v35, v3, v4 offset1:245
	v_fma_f16 v4, v37, v6, v9
	v_mul_f16_sdwa v6, v36, v11 dst_sel:DWORD dst_unused:UNUSED_PAD src0_sel:WORD_1 src1_sel:DWORD
	v_pack_b32_f16 v3, v5, v10
	v_fma_f16 v5, v36, v11, -v12
	v_pack_b32_f16 v4, v4, v8
	v_fma_f16 v6, v36, v7, v6
	ds_write2_b32 v2, v3, v4 offset0:10 offset1:255
	v_pack_b32_f16 v3, v6, v5
	ds_write_b32 v35, v3 offset:3920
	s_and_saveexec_b64 s[18:19], s[0:1]
	s_cbranch_execz .LBB0_3
; %bb.2:
	v_mov_b32_e32 v3, 0xfffff36c
	v_mad_u64_u32 v[0:1], s[20:21], s12, v3, v[0:1]
	s_mulk_i32 s13, 0xf36c
	s_sub_i32 s12, s13, s12
	v_add_u32_e32 v1, s12, v1
	global_load_dword v3, v[0:1], off
	v_mov_b32_e32 v4, s15
	v_add_co_u32_e32 v0, vcc, s14, v0
	v_addc_co_u32_e32 v1, vcc, v1, v4, vcc
	global_load_dword v5, v[0:1], off
	global_load_dword v6, v[16:17], off offset:700
	global_load_dword v7, v[16:17], off offset:1680
	v_add_co_u32_e32 v0, vcc, s14, v0
	v_addc_co_u32_e32 v1, vcc, v1, v4, vcc
	global_load_dword v8, v[0:1], off
	v_add_co_u32_e32 v0, vcc, s14, v0
	v_addc_co_u32_e32 v1, vcc, v1, v4, vcc
	global_load_dword v9, v[0:1], off
	global_load_dword v10, v[16:17], off offset:2660
	global_load_dword v11, v[16:17], off offset:3640
	v_add_co_u32_e32 v0, vcc, s14, v0
	v_addc_co_u32_e32 v1, vcc, v1, v4, vcc
	global_load_dword v4, v[0:1], off
	v_add_co_u32_e32 v0, vcc, 0x1000, v16
	v_addc_co_u32_e32 v1, vcc, 0, v17, vcc
	global_load_dword v0, v[0:1], off offset:524
	v_add_u32_e32 v1, 0x2a0, v35
	v_add_u32_e32 v12, 0xa40, v35
	s_waitcnt vmcnt(9)
	v_lshrrev_b32_e32 v13, 16, v3
	s_waitcnt vmcnt(7)
	v_mul_f16_sdwa v14, v6, v3 dst_sel:DWORD dst_unused:UNUSED_PAD src0_sel:WORD_1 src1_sel:DWORD
	v_mul_f16_sdwa v15, v6, v13 dst_sel:DWORD dst_unused:UNUSED_PAD src0_sel:WORD_1 src1_sel:DWORD
	v_fma_f16 v13, v6, v13, -v14
	v_lshrrev_b32_e32 v14, 16, v5
	s_waitcnt vmcnt(6)
	v_mul_f16_sdwa v19, v7, v5 dst_sel:DWORD dst_unused:UNUSED_PAD src0_sel:WORD_1 src1_sel:DWORD
	v_fma_f16 v3, v6, v3, v15
	v_mul_f16_sdwa v6, v7, v14 dst_sel:DWORD dst_unused:UNUSED_PAD src0_sel:WORD_1 src1_sel:DWORD
	v_fma_f16 v14, v7, v14, -v19
	s_waitcnt vmcnt(5)
	v_lshrrev_b32_e32 v15, 16, v8
	v_pack_b32_f16 v3, v3, v13
	s_waitcnt vmcnt(3)
	v_mul_f16_sdwa v19, v10, v8 dst_sel:DWORD dst_unused:UNUSED_PAD src0_sel:WORD_1 src1_sel:DWORD
	v_fma_f16 v5, v7, v5, v6
	v_mul_f16_sdwa v6, v10, v15 dst_sel:DWORD dst_unused:UNUSED_PAD src0_sel:WORD_1 src1_sel:DWORD
	v_fma_f16 v7, v10, v15, -v19
	v_lshrrev_b32_e32 v13, 16, v9
	s_waitcnt vmcnt(2)
	v_mul_f16_sdwa v15, v11, v9 dst_sel:DWORD dst_unused:UNUSED_PAD src0_sel:WORD_1 src1_sel:DWORD
	v_pack_b32_f16 v5, v5, v14
	v_fma_f16 v6, v10, v8, v6
	v_mul_f16_sdwa v8, v11, v13 dst_sel:DWORD dst_unused:UNUSED_PAD src0_sel:WORD_1 src1_sel:DWORD
	v_fma_f16 v10, v11, v13, -v15
	s_waitcnt vmcnt(1)
	v_lshrrev_b32_e32 v13, 16, v4
	s_waitcnt vmcnt(0)
	v_mul_f16_sdwa v14, v0, v4 dst_sel:DWORD dst_unused:UNUSED_PAD src0_sel:WORD_1 src1_sel:DWORD
	ds_write2_b32 v1, v3, v5 offset0:7 offset1:252
	v_mul_f16_sdwa v5, v0, v13 dst_sel:DWORD dst_unused:UNUSED_PAD src0_sel:WORD_1 src1_sel:DWORD
	v_pack_b32_f16 v1, v6, v7
	v_fma_f16 v3, v11, v9, v8
	v_fma_f16 v6, v0, v13, -v14
	v_fma_f16 v0, v0, v4, v5
	v_pack_b32_f16 v3, v3, v10
	v_pack_b32_f16 v0, v0, v6
	ds_write2_b32 v12, v1, v3 offset0:9 offset1:254
	ds_write_b32 v35, v0 offset:4620
.LBB0_3:
	s_or_b64 exec, exec, s[18:19]
	s_waitcnt lgkmcnt(0)
	s_barrier
	ds_read2_b32 v[0:1], v35 offset1:245
	ds_read2_b32 v[2:3], v2 offset0:10 offset1:255
	ds_read_b32 v12, v35 offset:3920
                                        ; implicit-def: $vgpr4
                                        ; implicit-def: $vgpr6
                                        ; implicit-def: $vgpr9
	s_and_saveexec_b64 s[12:13], s[0:1]
	s_cbranch_execz .LBB0_5
; %bb.4:
	v_add_u32_e32 v4, 0x2a0, v35
	v_add_u32_e32 v6, 0xa40, v35
	ds_read2_b32 v[4:5], v4 offset0:7 offset1:252
	ds_read2_b32 v[6:7], v6 offset0:9 offset1:254
	ds_read_b32 v9, v35 offset:4620
.LBB0_5:
	s_or_b64 exec, exec, s[12:13]
	s_waitcnt lgkmcnt(2)
	v_pk_add_f16 v8, v4, v5
	s_waitcnt lgkmcnt(1)
	v_pk_add_f16 v19, v6, v5 neg_lo:[0,1] neg_hi:[0,1]
	s_waitcnt lgkmcnt(0)
	v_pk_add_f16 v20, v7, v9 neg_lo:[0,1] neg_hi:[0,1]
	v_pk_add_f16 v8, v8, v6
	v_pk_add_f16 v11, v5, v9 neg_lo:[0,1] neg_hi:[0,1]
	v_pk_add_f16 v14, v6, v7 neg_lo:[0,1] neg_hi:[0,1]
	v_pk_add_f16 v10, v5, v9
	s_movk_i32 s12, 0x3b9c
	v_pk_add_f16 v19, v19, v20
	v_pk_add_f16 v20, v6, v7
	v_pk_add_f16 v5, v5, v6 neg_lo:[0,1] neg_hi:[0,1]
	v_pk_add_f16 v6, v9, v7 neg_lo:[0,1] neg_hi:[0,1]
	v_pk_add_f16 v8, v8, v7
	v_pk_fma_f16 v15, v10, 0.5, v4 op_sel_hi:[1,0,1] neg_lo:[1,0,0] neg_hi:[1,0,0]
	s_movk_i32 s13, 0x38b4
	v_pk_fma_f16 v4, v20, 0.5, v4 op_sel_hi:[1,0,1] neg_lo:[1,0,0] neg_hi:[1,0,0]
	v_pk_add_f16 v5, v5, v6
	v_pk_mul_f16 v6, v11, s12 op_sel_hi:[1,0]
	v_pk_add_f16 v8, v8, v9
	v_pk_mul_f16 v7, v14, s13 op_sel_hi:[1,0]
	v_pk_add_f16 v9, v4, v6 op_sel:[0,1] op_sel_hi:[1,0] neg_lo:[0,1] neg_hi:[0,1]
	v_pk_add_f16 v4, v4, v6 op_sel:[0,1] op_sel_hi:[1,0]
	v_pk_add_f16 v6, v9, v7 op_sel:[0,1] op_sel_hi:[1,0] neg_lo:[0,1] neg_hi:[0,1]
	s_mov_b32 s15, 0xffff
	v_pk_add_f16 v4, v4, v7 op_sel:[0,1] op_sel_hi:[1,0]
	v_pk_fma_f16 v10, v14, s12, v15 op_sel:[0,0,1] op_sel_hi:[1,0,0] neg_lo:[1,0,0] neg_hi:[1,0,0]
	s_movk_i32 s14, 0x34f2
	v_pk_fma_f16 v15, v14, s12, v15 op_sel:[0,0,1] op_sel_hi:[1,0,0]
	v_bfi_b32 v7, s15, v6, v4
	v_bfi_b32 v4, s15, v4, v6
	v_pk_add_f16 v13, v0, v1
	v_pk_fma_f16 v10, v11, s13, v10 op_sel_hi:[1,0,1]
	v_pk_mul_f16 v21, v19, s14 op_sel_hi:[1,0]
	v_pk_fma_f16 v15, v11, s13, v15 op_sel_hi:[1,0,1] neg_lo:[1,0,0] neg_hi:[1,0,0]
	v_pk_fma_f16 v9, v5, s14, v4 op_sel_hi:[1,0,1]
	v_pk_fma_f16 v20, v5, s14, v7 op_sel_hi:[1,0,1]
	v_mul_lo_u16_e32 v4, 5, v40
	v_pk_add_f16 v5, v2, v3
	v_pk_add_f16 v6, v1, v12 neg_lo:[0,1] neg_hi:[0,1]
	v_pk_add_f16 v19, v21, v10 op_sel:[1,0] op_sel_hi:[0,1]
	v_pk_add_f16 v11, v21, v15 op_sel:[1,0] op_sel_hi:[0,1]
	v_lshlrev_b32_e32 v42, 2, v4
	v_pk_add_f16 v4, v13, v2
	v_pk_fma_f16 v5, v5, 0.5, v0 op_sel_hi:[1,0,1] neg_lo:[1,0,0] neg_hi:[1,0,0]
	v_pk_mul_f16 v7, v6, s12 op_sel_hi:[1,0]
	v_pk_add_f16 v13, v2, v3 neg_lo:[0,1] neg_hi:[0,1]
	v_pk_add_f16 v15, v1, v2 neg_lo:[0,1] neg_hi:[0,1]
	;; [unrolled: 1-line block ×3, first 2 shown]
	v_pk_mul_f16 v14, v13, s13 op_sel_hi:[1,0]
	v_pk_add_f16 v15, v15, v21
	v_pk_add_f16 v21, v5, v7 op_sel:[0,1] op_sel_hi:[1,0]
	v_pk_add_f16 v5, v5, v7 op_sel:[0,1] op_sel_hi:[1,0] neg_lo:[0,1] neg_hi:[0,1]
	v_pk_add_f16 v7, v21, v14 op_sel:[0,1] op_sel_hi:[1,0]
	v_pk_add_f16 v5, v5, v14 op_sel:[0,1] op_sel_hi:[1,0] neg_lo:[0,1] neg_hi:[0,1]
	v_pk_add_f16 v4, v4, v3
	v_bfi_b32 v14, s15, v7, v5
	v_pk_add_f16 v4, v4, v12
	v_pk_fma_f16 v14, v15, s14, v14 op_sel_hi:[1,0,1]
	s_barrier
	ds_write2_b32 v42, v4, v14 offset1:1
	v_pk_add_f16 v4, v1, v12
	v_pk_add_f16 v1, v2, v1 neg_lo:[0,1] neg_hi:[0,1]
	v_pk_add_f16 v2, v3, v12 neg_lo:[0,1] neg_hi:[0,1]
	v_pk_fma_f16 v0, v4, 0.5, v0 op_sel_hi:[1,0,1] neg_lo:[1,0,0] neg_hi:[1,0,0]
	v_pk_add_f16 v1, v1, v2
	v_pk_mul_f16 v2, v13, s12 op_sel_hi:[1,0]
	v_pk_mul_f16 v3, v6, s13 op_sel_hi:[1,0]
	v_pk_add_f16 v4, v0, v2 op_sel:[0,1] op_sel_hi:[1,0] neg_lo:[0,1] neg_hi:[0,1]
	v_pk_add_f16 v0, v0, v2 op_sel:[0,1] op_sel_hi:[1,0]
	s_load_dwordx2 s[4:5], s[4:5], 0x8
	v_pk_add_f16 v2, v4, v3 op_sel:[0,1] op_sel_hi:[1,0]
	v_pk_add_f16 v0, v0, v3 op_sel:[0,1] op_sel_hi:[1,0] neg_lo:[0,1] neg_hi:[0,1]
	v_bfi_b32 v3, s15, v2, v0
	v_bfi_b32 v0, s15, v0, v2
	v_pk_fma_f16 v3, v1, s14, v3 op_sel_hi:[1,0,1]
	v_pk_fma_f16 v0, v1, s14, v0 op_sel_hi:[1,0,1]
	v_add_co_u32_e32 v23, vcc, 0xaf, v40
	ds_write2_b32 v42, v3, v0 offset0:2 offset1:3
	v_bfi_b32 v0, s15, v5, v7
	v_lshrrev_b32_e32 v10, 16, v19
	v_pk_fma_f16 v0, v15, s14, v0 op_sel_hi:[1,0,1]
	v_mul_u32_u24_e32 v43, 5, v23
	ds_write_b32 v42, v0 offset:16
	s_and_saveexec_b64 s[12:13], s[0:1]
	s_cbranch_execz .LBB0_7
; %bb.6:
	s_mov_b32 s14, 0x5040100
	v_lshlrev_b32_e32 v0, 2, v43
	v_perm_b32 v1, v11, v10, s14
	v_alignbit_b32 v2, v19, v11, 16
	ds_write2_b32 v0, v8, v9 offset1:1
	ds_write2_b32 v0, v1, v2 offset0:2 offset1:3
	ds_write_b32 v0, v20 offset:16
.LBB0_7:
	s_or_b64 exec, exec, s[12:13]
	v_add_u32_e32 v0, 0x780, v35
	s_waitcnt lgkmcnt(0)
	s_barrier
	ds_read2_b32 v[12:13], v35 offset1:245
	ds_read2_b32 v[14:15], v0 offset0:10 offset1:255
	ds_read_b32 v21, v35 offset:3920
	v_lshrrev_b32_e32 v22, 16, v9
	s_and_saveexec_b64 s[12:13], s[0:1]
	s_cbranch_execz .LBB0_9
; %bb.8:
	v_add_u32_e32 v0, 0x2a0, v35
	ds_read2_b32 v[8:9], v0 offset0:7 offset1:252
	v_add_u32_e32 v0, 0xa40, v35
	ds_read2_b32 v[10:11], v0 offset0:9 offset1:254
	ds_read_b32 v20, v35 offset:4620
	s_waitcnt lgkmcnt(2)
	v_lshrrev_b32_e32 v22, 16, v9
	s_waitcnt lgkmcnt(1)
	v_lshrrev_b32_e32 v19, 16, v11
	v_alignbit_b32 v11, v11, v10, 16
.LBB0_9:
	s_or_b64 exec, exec, s[12:13]
	s_mov_b32 s12, 0xcccd
	v_mul_u32_u24_sdwa v0, v23, s12 dst_sel:DWORD dst_unused:UNUSED_PAD src0_sel:WORD_0 src1_sel:DWORD
	v_lshrrev_b32_e32 v29, 18, v0
	s_movk_i32 s12, 0xcd
	v_mul_lo_u16_e32 v0, 5, v29
	v_mul_lo_u16_sdwa v4, v40, s12 dst_sel:DWORD dst_unused:UNUSED_PAD src0_sel:BYTE_0 src1_sel:DWORD
	v_sub_u16_e32 v30, v23, v0
	v_lshrrev_b16_e32 v23, 10, v4
	v_mul_lo_u16_e32 v4, 5, v23
	v_lshlrev_b16_e32 v0, 2, v30
	v_sub_u16_e32 v4, v40, v4
	v_lshlrev_b32_e32 v0, 2, v0
	v_and_b32_e32 v24, 0xff, v4
	global_load_dwordx4 v[0:3], v0, s[4:5]
	v_lshlrev_b32_e32 v4, 4, v24
	global_load_dwordx4 v[4:7], v4, s[4:5]
	v_lshrrev_b32_e32 v26, 16, v11
	s_waitcnt lgkmcnt(0)
	v_lshrrev_b32_e32 v27, 16, v20
	v_mul_u32_u24_e32 v23, 25, v23
	v_lshrrev_b32_e32 v28, 16, v14
	v_lshrrev_b32_e32 v31, 16, v15
	;; [unrolled: 1-line block ×4, first 2 shown]
	v_add_lshl_u32 v44, v23, v24, 2
	v_lshrrev_b32_e32 v34, 16, v12
	s_movk_i32 s12, 0x3b9c
	s_mov_b32 s15, 0xbb9c
	s_movk_i32 s13, 0x38b4
	s_mov_b32 s16, 0xb8b4
	s_movk_i32 s14, 0x34f2
	s_waitcnt vmcnt(0)
	s_barrier
	v_mul_f16_sdwa v23, v22, v0 dst_sel:DWORD dst_unused:UNUSED_PAD src0_sel:DWORD src1_sel:WORD_1
	v_mul_f16_sdwa v25, v11, v1 dst_sel:DWORD dst_unused:UNUSED_PAD src0_sel:DWORD src1_sel:WORD_1
	;; [unrolled: 1-line block ×13, first 2 shown]
	v_fma_f16 v10, v10, v1, -v25
	v_fma_f16 v9, v9, v0, -v23
	v_fma_f16 v25, v11, v1, v45
	v_fma_f16 v11, v26, v2, -v46
	v_fma_f16 v26, v19, v2, v47
	v_fma_f16 v19, v20, v3, -v48
	v_mul_f16_sdwa v52, v14, v5 dst_sel:DWORD dst_unused:UNUSED_PAD src0_sel:DWORD src1_sel:WORD_1
	v_mul_f16_sdwa v53, v15, v6 dst_sel:DWORD dst_unused:UNUSED_PAD src0_sel:DWORD src1_sel:WORD_1
	;; [unrolled: 1-line block ×3, first 2 shown]
	v_fma_f16 v20, v27, v3, v49
	v_fma_f16 v27, v14, v5, -v50
	v_fma_f16 v15, v15, v6, -v51
	;; [unrolled: 1-line block ×3, first 2 shown]
	v_fma_f16 v33, v33, v4, v56
	v_fma_f16 v45, v13, v4, -v57
	v_add_f16_e32 v23, v9, v19
	v_fma_f16 v22, v22, v0, v24
	v_fma_f16 v28, v28, v5, v52
	;; [unrolled: 1-line block ×4, first 2 shown]
	v_sub_f16_e32 v14, v25, v26
	v_sub_f16_e32 v24, v10, v9
	;; [unrolled: 1-line block ×3, first 2 shown]
	v_add_f16_e32 v47, v27, v15
	v_add_f16_e32 v49, v12, v45
	v_sub_f16_e32 v50, v45, v27
	v_sub_f16_e32 v51, v21, v15
	v_add_f16_e32 v54, v34, v33
	v_fma_f16 v23, v23, -0.5, v8
	v_sub_f16_e32 v13, v22, v20
	v_add_f16_e32 v48, v45, v21
	v_sub_f16_e32 v52, v33, v28
	v_sub_f16_e32 v53, v32, v31
	v_add_f16_e32 v24, v24, v46
	v_fma_f16 v46, v47, -0.5, v12
	v_add_f16_e32 v47, v50, v51
	v_add_f16_e32 v49, v49, v27
	;; [unrolled: 1-line block ×3, first 2 shown]
	v_fma_f16 v51, v14, s15, v23
	v_fma_f16 v23, v14, s12, v23
	v_fma_f16 v12, v48, -0.5, v12
	v_add_f16_e32 v48, v52, v53
	v_add_f16_e32 v49, v49, v15
	;; [unrolled: 1-line block ×3, first 2 shown]
	v_fma_f16 v51, v13, s13, v51
	v_fma_f16 v52, v13, s16, v23
	v_add_f16_e32 v49, v49, v21
	v_add_f16_e32 v50, v50, v32
	v_fma_f16 v23, v24, s14, v51
	v_fma_f16 v24, v24, s14, v52
	v_sub_f16_e32 v52, v28, v31
	v_pack_b32_f16 v49, v49, v50
	v_sub_f16_e32 v50, v33, v32
	v_sub_f16_e32 v54, v45, v21
	;; [unrolled: 1-line block ×5, first 2 shown]
	v_fma_f16 v21, v52, s15, v12
	v_fma_f16 v12, v52, s12, v12
	v_add_f16_e32 v15, v27, v15
	v_fma_f16 v21, v50, s13, v21
	v_fma_f16 v12, v50, s16, v12
	;; [unrolled: 1-line block ×4, first 2 shown]
	v_add_f16_e32 v15, v33, v32
	v_add_f16_e32 v53, v28, v31
	v_fma_f16 v15, v15, -0.5, v34
	v_sub_f16_e32 v27, v28, v33
	v_sub_f16_e32 v28, v31, v32
	v_add_f16_e32 v27, v27, v28
	v_fma_f16 v28, v56, s12, v15
	v_fma_f16 v15, v56, s15, v15
	v_fma_f16 v28, v54, s16, v28
	v_fma_f16 v15, v54, s13, v15
	v_fma_f16 v28, v27, s14, v28
	v_fma_f16 v15, v27, s14, v15
	v_pack_b32_f16 v21, v21, v28
	v_pack_b32_f16 v12, v12, v15
	ds_write2_b32 v44, v21, v12 offset0:10 offset1:15
	v_fma_f16 v12, v50, s15, v46
	v_fma_f16 v53, v53, -0.5, v34
	v_fma_f16 v12, v52, s16, v12
	v_fma_f16 v31, v47, s14, v12
	v_fma_f16 v12, v54, s12, v53
	v_fma_f16 v12, v56, s13, v12
	v_fma_f16 v32, v48, s14, v12
	v_sub_f16_e32 v12, v9, v10
	v_sub_f16_e32 v15, v19, v11
	v_add_f16_e32 v12, v12, v15
	v_sub_f16_e32 v15, v22, v25
	v_sub_f16_e32 v21, v20, v26
	v_add_f16_e32 v21, v15, v21
	;; [unrolled: 3-line block ×3, first 2 shown]
	v_lshrrev_b32_e32 v15, 16, v8
	v_add_f16_e32 v27, v22, v20
	v_fma_f16 v34, v27, -0.5, v15
	v_sub_f16_e32 v28, v10, v11
	v_fma_f16 v51, v50, s12, v46
	v_sub_f16_e32 v27, v9, v19
	v_fma_f16 v45, v28, s12, v34
	v_fma_f16 v51, v52, s13, v51
	v_fma_f16 v45, v27, s16, v45
	v_fma_f16 v51, v47, s14, v51
	v_fma_f16 v47, v33, s14, v45
	v_mad_legacy_u16 v45, v29, 25, v30
	v_add_f16_e32 v29, v10, v11
	v_fma_f16 v29, v29, -0.5, v8
	v_fma_f16 v30, v13, s15, v29
	v_fma_f16 v30, v14, s16, v30
	;; [unrolled: 1-line block ×4, first 2 shown]
	v_add_f16_e32 v30, v25, v26
	v_fma_f16 v55, v56, s16, v55
	v_pack_b32_f16 v31, v31, v32
	v_fma_f16 v30, v30, -0.5, v15
	v_fma_f16 v55, v48, s14, v55
	v_fma_f16 v34, v28, s15, v34
	ds_write_b32 v44, v31 offset:80
	v_fma_f16 v31, v27, s12, v30
	v_pack_b32_f16 v51, v51, v55
	v_fma_f16 v34, v27, s13, v34
	v_fma_f16 v31, v28, s13, v31
	ds_write2_b32 v44, v49, v51 offset1:5
	v_fma_f16 v48, v33, s14, v34
	v_fma_f16 v49, v21, s14, v31
	s_and_saveexec_b64 s[12:13], s[0:1]
	s_cbranch_execz .LBB0_11
; %bb.10:
	v_mul_f16_e32 v13, 0x3b9c, v13
	v_mul_f16_e32 v27, 0x3b9c, v27
	v_add_f16_e32 v15, v15, v22
	v_add_f16_e32 v8, v8, v9
	v_mul_f16_e32 v14, 0x38b4, v14
	v_mul_f16_e32 v28, 0x38b4, v28
	v_sub_f16_e32 v27, v30, v27
	v_add_f16_e32 v15, v15, v25
	v_add_f16_e32 v13, v29, v13
	;; [unrolled: 1-line block ×3, first 2 shown]
	v_mul_f16_e32 v12, 0x34f2, v12
	v_mul_f16_e32 v21, 0x34f2, v21
	v_sub_f16_e32 v27, v27, v28
	v_add_f16_e32 v15, v15, v26
	v_add_f16_e32 v13, v14, v13
	;; [unrolled: 1-line block ×7, first 2 shown]
	v_lshlrev_b32_e32 v9, 2, v45
	v_pack_b32_f16 v8, v8, v15
	v_pack_b32_f16 v10, v12, v21
	s_mov_b32 s14, 0x5040100
	ds_write2_b32 v9, v8, v10 offset1:5
	v_perm_b32 v8, v47, v23, s14
	v_perm_b32 v10, v48, v24, s14
	ds_write2_b32 v9, v8, v10 offset0:10 offset1:15
	v_perm_b32 v8, v49, v50, s14
	ds_write_b32 v9, v8 offset:80
.LBB0_11:
	s_or_b64 exec, exec, s[12:13]
	v_mov_b32_e32 v8, 41
	v_mul_lo_u16_sdwa v8, v40, v8 dst_sel:DWORD dst_unused:UNUSED_PAD src0_sel:BYTE_0 src1_sel:DWORD
	v_lshrrev_b16_e32 v25, 10, v8
	v_mul_lo_u16_e32 v8, 25, v25
	v_sub_u16_e32 v8, v40, v8
	v_and_b32_e32 v26, 0xff, v8
	v_mad_u64_u32 v[12:13], s[12:13], v26, 24, s[4:5]
	s_waitcnt lgkmcnt(0)
	s_barrier
	global_load_dwordx4 v[8:11], v[12:13], off offset:80
	global_load_dwordx2 v[19:20], v[12:13], off offset:96
	v_add_u32_e32 v31, 0x500, v35
	v_add_u32_e32 v32, 0xa00, v35
	ds_read2_b32 v[12:13], v35 offset1:175
	ds_read_b32 v27, v35 offset:4200
	ds_read2_b32 v[14:15], v31 offset0:30 offset1:205
	ds_read2_b32 v[21:22], v32 offset0:60 offset1:235
	s_movk_i32 s13, 0x2b26
	s_waitcnt lgkmcnt(3)
	v_lshrrev_b32_e32 v28, 16, v13
	s_waitcnt lgkmcnt(2)
	v_lshrrev_b32_e32 v29, 16, v27
	s_waitcnt lgkmcnt(1)
	v_lshrrev_b32_e32 v30, 16, v14
	s_waitcnt lgkmcnt(0)
	v_lshrrev_b32_e32 v46, 16, v22
	v_lshrrev_b32_e32 v33, 16, v15
	v_lshrrev_b32_e32 v34, 16, v21
	s_mov_b32 s14, 0xbcab
	s_movk_i32 s15, 0x39e0
	s_mov_b32 s16, 0xb9e0
	s_movk_i32 s18, 0x3574
	s_movk_i32 s12, 0x3b00
	s_mov_b32 s19, 0xb574
	s_movk_i32 s20, 0x370e
	v_mul_u32_u24_e32 v25, 0xaf, v25
	s_waitcnt vmcnt(0)
	s_barrier
	v_mul_f16_sdwa v51, v28, v8 dst_sel:DWORD dst_unused:UNUSED_PAD src0_sel:DWORD src1_sel:WORD_1
	v_mul_f16_sdwa v52, v13, v8 dst_sel:DWORD dst_unused:UNUSED_PAD src0_sel:DWORD src1_sel:WORD_1
	;; [unrolled: 1-line block ×12, first 2 shown]
	v_fma_f16 v13, v13, v8, -v51
	v_fma_f16 v28, v28, v8, v52
	v_fma_f16 v14, v14, v9, -v53
	v_fma_f16 v30, v30, v9, v54
	;; [unrolled: 2-line block ×6, first 2 shown]
	v_add_f16_e32 v51, v13, v27
	v_add_f16_e32 v52, v28, v29
	v_sub_f16_e32 v13, v13, v27
	v_sub_f16_e32 v27, v28, v29
	v_add_f16_e32 v28, v14, v22
	v_add_f16_e32 v29, v30, v46
	v_sub_f16_e32 v14, v14, v22
	v_sub_f16_e32 v22, v30, v46
	;; [unrolled: 4-line block ×4, first 2 shown]
	v_sub_f16_e32 v51, v51, v30
	v_sub_f16_e32 v52, v52, v46
	;; [unrolled: 1-line block ×4, first 2 shown]
	v_add_f16_e32 v55, v15, v14
	v_add_f16_e32 v56, v21, v22
	v_sub_f16_e32 v57, v15, v14
	v_sub_f16_e32 v58, v21, v22
	v_add_f16_e32 v30, v30, v33
	v_add_f16_e32 v33, v46, v34
	v_sub_f16_e32 v15, v13, v15
	v_sub_f16_e32 v21, v27, v21
	;; [unrolled: 1-line block ×4, first 2 shown]
	v_add_f16_e32 v13, v55, v13
	v_add_f16_e32 v27, v56, v27
	v_mul_f16_e32 v34, 0x3a52, v51
	v_mul_f16_e32 v46, 0x3a52, v52
	;; [unrolled: 1-line block ×6, first 2 shown]
	v_add_f16_e32 v59, v12, v30
	v_add_f16_sdwa v12, v12, v33 dst_sel:DWORD dst_unused:UNUSED_PAD src0_sel:WORD_1 src1_sel:DWORD
	v_mul_f16_e32 v57, 0x3b00, v14
	v_mul_f16_e32 v58, 0x3b00, v22
	v_fma_f16 v28, v28, s13, v34
	v_fma_f16 v30, v30, s14, v59
	;; [unrolled: 1-line block ×4, first 2 shown]
	v_fma_f16 v51, v53, s15, -v51
	v_fma_f16 v52, v54, s15, -v52
	;; [unrolled: 1-line block ×4, first 2 shown]
	v_fma_f16 v53, v15, s18, v55
	v_fma_f16 v54, v21, s18, v56
	v_fma_f16 v14, v14, s12, -v55
	v_fma_f16 v22, v22, s12, -v56
	;; [unrolled: 1-line block ×4, first 2 shown]
	v_add_f16_e32 v28, v28, v30
	v_add_f16_e32 v29, v29, v33
	;; [unrolled: 1-line block ×6, first 2 shown]
	v_fma_f16 v34, v13, s20, v53
	v_fma_f16 v46, v27, s20, v54
	;; [unrolled: 1-line block ×6, first 2 shown]
	v_add_f16_e32 v21, v46, v28
	v_sub_f16_e32 v27, v29, v34
	v_add_f16_e32 v53, v15, v30
	v_sub_f16_e32 v54, v33, v13
	v_sub_f16_e32 v55, v51, v22
	v_add_f16_e32 v56, v14, v52
	v_sub_f16_e32 v28, v28, v46
	v_add_lshl_u32 v46, v25, v26, 2
	v_pack_b32_f16 v12, v59, v12
	v_pack_b32_f16 v21, v21, v27
	v_mad_u64_u32 v[25:26], s[4:5], v40, 24, s[4:5]
	v_add_f16_e32 v22, v22, v51
	v_sub_f16_e32 v14, v52, v14
	v_sub_f16_e32 v15, v30, v15
	v_add_f16_e32 v13, v13, v33
	ds_write2_b32 v46, v12, v21 offset1:25
	v_pack_b32_f16 v12, v53, v54
	v_pack_b32_f16 v21, v55, v56
	v_add_f16_e32 v29, v34, v29
	ds_write2_b32 v46, v12, v21 offset0:50 offset1:75
	v_pack_b32_f16 v12, v22, v14
	v_pack_b32_f16 v13, v15, v13
	ds_write2_b32 v46, v12, v13 offset0:100 offset1:125
	v_pack_b32_f16 v12, v28, v29
	ds_write_b32 v46, v12 offset:600
	s_waitcnt lgkmcnt(0)
	s_barrier
	global_load_dwordx4 v[12:15], v[25:26], off offset:680
	global_load_dwordx2 v[21:22], v[25:26], off offset:696
	ds_read2_b32 v[25:26], v35 offset1:175
	ds_read2_b32 v[27:28], v31 offset0:30 offset1:205
	v_mov_b32_e32 v29, s17
	v_addc_co_u32_e64 v33, vcc, 0, v29, s[2:3]
	ds_read2_b32 v[29:30], v32 offset0:60 offset1:235
	ds_read_b32 v34, v35 offset:4200
	s_waitcnt lgkmcnt(3)
	v_lshrrev_b32_e32 v51, 16, v26
	s_waitcnt lgkmcnt(2)
	v_lshrrev_b32_e32 v53, 16, v28
	v_lshrrev_b32_e32 v52, 16, v27
	s_waitcnt lgkmcnt(1)
	v_lshrrev_b32_e32 v54, 16, v29
	;; [unrolled: 3-line block ×3, first 2 shown]
	s_movk_i32 s2, 0x1000
	s_waitcnt vmcnt(1)
	v_mul_f16_sdwa v57, v51, v12 dst_sel:DWORD dst_unused:UNUSED_PAD src0_sel:DWORD src1_sel:WORD_1
	v_mul_f16_sdwa v61, v53, v14 dst_sel:DWORD dst_unused:UNUSED_PAD src0_sel:DWORD src1_sel:WORD_1
	v_mul_f16_sdwa v58, v26, v12 dst_sel:DWORD dst_unused:UNUSED_PAD src0_sel:DWORD src1_sel:WORD_1
	v_fma_f16 v26, v26, v12, -v57
	v_fma_f16 v57, v28, v14, -v61
	v_mul_f16_sdwa v28, v28, v14 dst_sel:DWORD dst_unused:UNUSED_PAD src0_sel:DWORD src1_sel:WORD_1
	v_fma_f16 v28, v53, v14, v28
	v_mul_f16_sdwa v53, v54, v15 dst_sel:DWORD dst_unused:UNUSED_PAD src0_sel:DWORD src1_sel:WORD_1
	v_fma_f16 v53, v29, v15, -v53
	v_mul_f16_sdwa v29, v29, v15 dst_sel:DWORD dst_unused:UNUSED_PAD src0_sel:DWORD src1_sel:WORD_1
	v_fma_f16 v29, v54, v15, v29
	s_waitcnt vmcnt(0)
	v_mul_f16_sdwa v54, v55, v21 dst_sel:DWORD dst_unused:UNUSED_PAD src0_sel:DWORD src1_sel:WORD_1
	v_fma_f16 v54, v30, v21, -v54
	v_mul_f16_sdwa v30, v30, v21 dst_sel:DWORD dst_unused:UNUSED_PAD src0_sel:DWORD src1_sel:WORD_1
	v_fma_f16 v30, v55, v21, v30
	v_mul_f16_sdwa v55, v56, v22 dst_sel:DWORD dst_unused:UNUSED_PAD src0_sel:DWORD src1_sel:WORD_1
	v_mul_f16_sdwa v59, v52, v13 dst_sel:DWORD dst_unused:UNUSED_PAD src0_sel:DWORD src1_sel:WORD_1
	;; [unrolled: 1-line block ×3, first 2 shown]
	v_fma_f16 v55, v34, v22, -v55
	v_mul_f16_sdwa v34, v34, v22 dst_sel:DWORD dst_unused:UNUSED_PAD src0_sel:DWORD src1_sel:WORD_1
	v_fma_f16 v51, v51, v12, v58
	v_fma_f16 v27, v27, v13, -v59
	v_fma_f16 v52, v52, v13, v60
	v_fma_f16 v34, v56, v22, v34
	v_add_f16_e32 v56, v26, v55
	v_add_f16_e32 v58, v51, v34
	v_sub_f16_e32 v26, v26, v55
	v_sub_f16_e32 v34, v51, v34
	v_add_f16_e32 v51, v27, v54
	v_add_f16_e32 v55, v52, v30
	v_sub_f16_e32 v27, v27, v54
	v_sub_f16_e32 v30, v52, v30
	;; [unrolled: 4-line block ×4, first 2 shown]
	v_sub_f16_e32 v56, v56, v52
	v_sub_f16_e32 v58, v58, v54
	;; [unrolled: 1-line block ×4, first 2 shown]
	v_add_f16_e32 v61, v53, v27
	v_add_f16_e32 v62, v28, v30
	v_sub_f16_e32 v63, v53, v27
	v_sub_f16_e32 v64, v28, v30
	v_add_f16_e32 v29, v52, v29
	v_add_f16_e32 v52, v54, v57
	v_sub_f16_e32 v53, v26, v53
	v_sub_f16_e32 v28, v34, v28
	;; [unrolled: 1-line block ×4, first 2 shown]
	v_add_f16_e32 v26, v61, v26
	v_add_f16_e32 v34, v62, v34
	;; [unrolled: 1-line block ×3, first 2 shown]
	v_add_f16_sdwa v25, v25, v52 dst_sel:DWORD dst_unused:UNUSED_PAD src0_sel:WORD_1 src1_sel:DWORD
	v_mul_f16_e32 v56, 0x3a52, v56
	v_mul_f16_e32 v57, 0x3a52, v58
	;; [unrolled: 1-line block ×8, first 2 shown]
	v_fma_f16 v29, v29, s14, v54
	v_fma_f16 v52, v52, s14, v25
	;; [unrolled: 1-line block ×4, first 2 shown]
	v_fma_f16 v58, v59, s15, -v58
	v_fma_f16 v61, v60, s15, -v61
	;; [unrolled: 1-line block ×4, first 2 shown]
	v_fma_f16 v59, v53, s18, v62
	v_fma_f16 v60, v28, s18, v63
	v_fma_f16 v27, v27, s12, -v62
	v_fma_f16 v30, v30, s12, -v63
	;; [unrolled: 1-line block ×4, first 2 shown]
	v_add_f16_e32 v62, v51, v29
	v_add_f16_e32 v55, v55, v52
	;; [unrolled: 1-line block ×6, first 2 shown]
	v_fma_f16 v56, v26, s20, v59
	v_fma_f16 v57, v34, s20, v60
	;; [unrolled: 1-line block ×6, first 2 shown]
	v_add_f16_e32 v34, v57, v62
	v_sub_f16_e32 v53, v55, v56
	v_add_f16_e32 v59, v28, v29
	v_sub_f16_e32 v60, v52, v26
	v_sub_f16_e32 v61, v51, v30
	v_add_f16_e32 v63, v27, v58
	v_add_f16_e32 v30, v30, v51
	;; [unrolled: 1-line block ×3, first 2 shown]
	v_pack_b32_f16 v25, v54, v25
	v_pack_b32_f16 v26, v34, v53
	v_sub_f16_e32 v58, v58, v27
	v_sub_f16_e32 v27, v29, v28
	ds_write2_b32 v35, v25, v26 offset1:175
	v_pack_b32_f16 v25, v59, v60
	v_pack_b32_f16 v26, v61, v63
	v_sub_f16_e32 v28, v62, v57
	v_add_f16_e32 v52, v56, v55
	ds_write2_b32 v31, v25, v26 offset0:30 offset1:205
	v_pack_b32_f16 v25, v30, v58
	v_pack_b32_f16 v26, v27, v51
	ds_write2_b32 v32, v25, v26 offset0:60 offset1:235
	v_pack_b32_f16 v25, v28, v52
	ds_write_b32 v35, v25 offset:4200
	v_add_co_u32_e32 v25, vcc, s2, v16
	v_addc_co_u32_e32 v26, vcc, 0, v33, vcc
	s_waitcnt lgkmcnt(0)
	s_barrier
	global_load_dword v31, v[25:26], off offset:804
	s_movk_i32 s2, 0x1324
	v_add_co_u32_e32 v25, vcc, s2, v16
	v_addc_co_u32_e32 v26, vcc, 0, v33, vcc
	global_load_dword v32, v[25:26], off offset:980
	global_load_dword v33, v[25:26], off offset:1960
	;; [unrolled: 1-line block ×4, first 2 shown]
	ds_read2_b32 v[29:30], v35 offset1:245
	s_waitcnt lgkmcnt(0)
	v_lshrrev_b32_e32 v54, 16, v29
	s_waitcnt vmcnt(4)
	v_mul_f16_sdwa v55, v54, v31 dst_sel:DWORD dst_unused:UNUSED_PAD src0_sel:DWORD src1_sel:WORD_1
	v_fma_f16 v55, v29, v31, -v55
	v_mul_f16_sdwa v29, v29, v31 dst_sel:DWORD dst_unused:UNUSED_PAD src0_sel:DWORD src1_sel:WORD_1
	v_fma_f16 v29, v54, v31, v29
	v_lshrrev_b32_e32 v31, 16, v30
	s_waitcnt vmcnt(3)
	v_mul_f16_sdwa v54, v31, v32 dst_sel:DWORD dst_unused:UNUSED_PAD src0_sel:DWORD src1_sel:WORD_1
	v_fma_f16 v54, v30, v32, -v54
	v_mul_f16_sdwa v30, v30, v32 dst_sel:DWORD dst_unused:UNUSED_PAD src0_sel:DWORD src1_sel:WORD_1
	v_fma_f16 v30, v31, v32, v30
	v_pack_b32_f16 v29, v55, v29
	v_pack_b32_f16 v30, v54, v30
	ds_write2_b32 v35, v29, v30 offset1:245
	v_add_u32_e32 v29, 0x780, v35
	ds_read2_b32 v[30:31], v29 offset0:10 offset1:255
	s_waitcnt lgkmcnt(0)
	v_lshrrev_b32_e32 v32, 16, v30
	s_waitcnt vmcnt(2)
	v_mul_f16_sdwa v54, v32, v33 dst_sel:DWORD dst_unused:UNUSED_PAD src0_sel:DWORD src1_sel:WORD_1
	v_fma_f16 v54, v30, v33, -v54
	v_mul_f16_sdwa v30, v30, v33 dst_sel:DWORD dst_unused:UNUSED_PAD src0_sel:DWORD src1_sel:WORD_1
	v_fma_f16 v30, v32, v33, v30
	v_pack_b32_f16 v30, v54, v30
	v_lshrrev_b32_e32 v32, 16, v31
	ds_read_b32 v54, v35 offset:3920
	s_waitcnt vmcnt(1)
	v_mul_f16_sdwa v33, v32, v34 dst_sel:DWORD dst_unused:UNUSED_PAD src0_sel:DWORD src1_sel:WORD_1
	v_fma_f16 v33, v31, v34, -v33
	v_mul_f16_sdwa v31, v31, v34 dst_sel:DWORD dst_unused:UNUSED_PAD src0_sel:DWORD src1_sel:WORD_1
	v_fma_f16 v31, v32, v34, v31
	v_pack_b32_f16 v31, v33, v31
	ds_write2_b32 v29, v30, v31 offset0:10 offset1:255
	s_waitcnt lgkmcnt(1)
	v_lshrrev_b32_e32 v30, 16, v54
	s_waitcnt vmcnt(0)
	v_mul_f16_sdwa v31, v30, v53 dst_sel:DWORD dst_unused:UNUSED_PAD src0_sel:DWORD src1_sel:WORD_1
	v_mul_f16_sdwa v32, v54, v53 dst_sel:DWORD dst_unused:UNUSED_PAD src0_sel:DWORD src1_sel:WORD_1
	v_fma_f16 v31, v54, v53, -v31
	v_fma_f16 v30, v30, v53, v32
	v_pack_b32_f16 v30, v31, v30
	ds_write_b32 v35, v30 offset:3920
	s_and_saveexec_b64 s[2:3], s[0:1]
	s_cbranch_execz .LBB0_13
; %bb.12:
	global_load_dword v32, v[25:26], off offset:700
	global_load_dword v33, v[25:26], off offset:1680
	;; [unrolled: 1-line block ×4, first 2 shown]
	v_add_co_u32_e32 v25, vcc, 0x1000, v25
	v_addc_co_u32_e32 v26, vcc, 0, v26, vcc
	global_load_dword v54, v[25:26], off offset:524
	v_add_u32_e32 v55, 0x2a0, v35
	ds_read_b32 v56, v35 offset:4620
	ds_read2_b32 v[25:26], v55 offset0:7 offset1:252
	v_add_u32_e32 v57, 0xa40, v35
	ds_read2_b32 v[30:31], v57 offset0:9 offset1:254
	s_waitcnt lgkmcnt(2)
	v_lshrrev_b32_e32 v58, 16, v56
	s_waitcnt lgkmcnt(1)
	v_lshrrev_b32_e32 v59, 16, v25
	v_lshrrev_b32_e32 v60, 16, v26
	s_waitcnt lgkmcnt(0)
	v_lshrrev_b32_e32 v61, 16, v30
	v_lshrrev_b32_e32 v62, 16, v31
	s_waitcnt vmcnt(4)
	v_mul_f16_sdwa v63, v59, v32 dst_sel:DWORD dst_unused:UNUSED_PAD src0_sel:DWORD src1_sel:WORD_1
	v_mul_f16_sdwa v64, v25, v32 dst_sel:DWORD dst_unused:UNUSED_PAD src0_sel:DWORD src1_sel:WORD_1
	s_waitcnt vmcnt(3)
	v_mul_f16_sdwa v65, v60, v33 dst_sel:DWORD dst_unused:UNUSED_PAD src0_sel:DWORD src1_sel:WORD_1
	v_mul_f16_sdwa v66, v26, v33 dst_sel:DWORD dst_unused:UNUSED_PAD src0_sel:DWORD src1_sel:WORD_1
	;; [unrolled: 3-line block ×4, first 2 shown]
	v_fma_f16 v25, v25, v32, -v63
	v_fma_f16 v32, v59, v32, v64
	v_fma_f16 v26, v26, v33, -v65
	v_fma_f16 v33, v60, v33, v66
	;; [unrolled: 2-line block ×4, first 2 shown]
	v_pack_b32_f16 v25, v25, v32
	v_pack_b32_f16 v26, v26, v33
	s_waitcnt vmcnt(0)
	v_mul_f16_sdwa v32, v58, v54 dst_sel:DWORD dst_unused:UNUSED_PAD src0_sel:DWORD src1_sel:WORD_1
	v_mul_f16_sdwa v33, v56, v54 dst_sel:DWORD dst_unused:UNUSED_PAD src0_sel:DWORD src1_sel:WORD_1
	v_pack_b32_f16 v30, v30, v34
	v_pack_b32_f16 v31, v31, v53
	ds_write2_b32 v55, v25, v26 offset0:7 offset1:252
	ds_write2_b32 v57, v30, v31 offset0:9 offset1:254
	v_fma_f16 v25, v56, v54, -v32
	v_fma_f16 v26, v58, v54, v33
	v_pack_b32_f16 v25, v25, v26
	ds_write_b32 v35, v25 offset:4620
.LBB0_13:
	s_or_b64 exec, exec, s[2:3]
	s_waitcnt lgkmcnt(0)
	s_barrier
	ds_read2_b32 v[31:32], v35 offset1:245
	ds_read2_b32 v[33:34], v29 offset0:10 offset1:255
	ds_read_b32 v56, v35 offset:3920
	s_and_saveexec_b64 s[2:3], s[0:1]
	s_cbranch_execz .LBB0_15
; %bb.14:
	v_add_u32_e32 v23, 0x2a0, v35
	ds_read2_b32 v[27:28], v23 offset0:7 offset1:252
	v_add_u32_e32 v23, 0xa40, v35
	ds_read2_b32 v[23:24], v23 offset0:9 offset1:254
	ds_read_b32 v50, v35 offset:4620
	s_waitcnt lgkmcnt(2)
	v_lshrrev_b32_e32 v51, 16, v27
	v_lshrrev_b32_e32 v52, 16, v28
	s_waitcnt lgkmcnt(1)
	v_lshrrev_b32_e32 v47, 16, v23
	v_lshrrev_b32_e32 v48, 16, v24
	s_waitcnt lgkmcnt(0)
	v_lshrrev_b32_e32 v49, 16, v50
.LBB0_15:
	s_or_b64 exec, exec, s[2:3]
	v_add_f16_e32 v26, v23, v24
	v_fma_f16 v29, v26, -0.5, v27
	v_sub_f16_e32 v30, v52, v49
	s_mov_b32 s2, 0xbb9c
	s_movk_i32 s5, 0x3b9c
	v_fma_f16 v26, v30, s2, v29
	v_sub_f16_e32 v53, v47, v48
	s_mov_b32 s3, 0xb8b4
	v_sub_f16_e32 v54, v28, v23
	v_sub_f16_e32 v55, v50, v24
	v_fma_f16 v29, v30, s5, v29
	s_movk_i32 s12, 0x38b4
	v_fma_f16 v26, v53, s3, v26
	v_add_f16_e32 v54, v54, v55
	s_movk_i32 s4, 0x34f2
	v_fma_f16 v29, v53, s12, v29
	v_fma_f16 v26, v54, s4, v26
	;; [unrolled: 1-line block ×3, first 2 shown]
	v_add_f16_e32 v29, v28, v50
	v_add_f16_e32 v25, v27, v28
	v_fma_f16 v27, v29, -0.5, v27
	v_fma_f16 v29, v53, s5, v27
	v_sub_f16_e32 v55, v23, v28
	v_sub_f16_e32 v58, v24, v50
	v_fma_f16 v27, v53, s2, v27
	v_add_f16_e32 v55, v55, v58
	v_fma_f16 v27, v30, s12, v27
	v_fma_f16 v29, v30, s3, v29
	;; [unrolled: 1-line block ×3, first 2 shown]
	v_add_f16_e32 v27, v51, v52
	v_add_f16_e32 v27, v27, v47
	;; [unrolled: 1-line block ×7, first 2 shown]
	v_fma_f16 v27, v27, -0.5, v51
	v_sub_f16_e32 v28, v28, v50
	v_add_f16_e32 v25, v25, v50
	v_fma_f16 v50, v28, s5, v27
	v_sub_f16_e32 v23, v23, v24
	v_fma_f16 v29, v55, s4, v29
	v_fma_f16 v24, v23, s12, v50
	v_sub_f16_e32 v50, v52, v47
	v_sub_f16_e32 v55, v49, v48
	v_add_f16_e32 v55, v50, v55
	v_fma_f16 v50, v55, s4, v24
	v_fma_f16 v24, v28, s2, v27
	;; [unrolled: 1-line block ×4, first 2 shown]
	v_add_f16_e32 v24, v52, v49
	v_fma_f16 v24, v24, -0.5, v51
	v_fma_f16 v27, v23, s2, v24
	v_sub_f16_e32 v47, v47, v52
	v_sub_f16_e32 v48, v48, v49
	v_fma_f16 v27, v28, s12, v27
	v_add_f16_e32 v48, v47, v48
	v_fma_f16 v23, v23, s5, v24
	s_waitcnt lgkmcnt(2)
	v_pk_add_f16 v57, v31, v32
	v_fma_f16 v47, v48, s4, v27
	v_fma_f16 v23, v28, s3, v23
	s_waitcnt lgkmcnt(1)
	v_pk_add_f16 v24, v33, v34
	s_waitcnt lgkmcnt(0)
	v_pk_add_f16 v27, v32, v56 neg_lo:[0,1] neg_hi:[0,1]
	v_fma_f16 v48, v48, s4, v23
	v_pk_add_f16 v23, v57, v33
	v_pk_fma_f16 v24, v24, 0.5, v31 op_sel_hi:[1,0,1] neg_lo:[1,0,0] neg_hi:[1,0,0]
	v_pk_mul_f16 v28, v27, s5 op_sel_hi:[1,0]
	v_pk_add_f16 v49, v33, v34 neg_lo:[0,1] neg_hi:[0,1]
	v_pk_add_f16 v52, v32, v33 neg_lo:[0,1] neg_hi:[0,1]
	;; [unrolled: 1-line block ×3, first 2 shown]
	v_pk_mul_f16 v51, v49, s12 op_sel_hi:[1,0]
	v_pk_add_f16 v52, v52, v57
	v_pk_add_f16 v57, v24, v28 op_sel:[0,1] op_sel_hi:[1,0] neg_lo:[0,1] neg_hi:[0,1]
	v_pk_add_f16 v24, v24, v28 op_sel:[0,1] op_sel_hi:[1,0]
	v_pk_add_f16 v28, v57, v51 op_sel:[0,1] op_sel_hi:[1,0] neg_lo:[0,1] neg_hi:[0,1]
	s_mov_b32 s2, 0xffff
	v_pk_add_f16 v24, v24, v51 op_sel:[0,1] op_sel_hi:[1,0]
	v_pk_add_f16 v23, v23, v34
	v_bfi_b32 v51, s2, v28, v24
	v_pk_add_f16 v23, v23, v56
	v_pk_fma_f16 v51, v52, s4, v51 op_sel_hi:[1,0,1]
	s_barrier
	ds_write2_b32 v42, v23, v51 offset1:1
	v_pk_add_f16 v23, v32, v56
	v_pk_fma_f16 v23, v23, 0.5, v31 op_sel_hi:[1,0,1] neg_lo:[1,0,0] neg_hi:[1,0,0]
	v_pk_add_f16 v31, v33, v32 neg_lo:[0,1] neg_hi:[0,1]
	v_pk_add_f16 v32, v34, v56 neg_lo:[0,1] neg_hi:[0,1]
	v_pk_add_f16 v31, v31, v32
	v_pk_mul_f16 v32, v49, s5 op_sel_hi:[1,0]
	v_pk_mul_f16 v27, v27, s12 op_sel_hi:[1,0]
	v_pk_add_f16 v33, v23, v32 op_sel:[0,1] op_sel_hi:[1,0]
	v_pk_add_f16 v23, v23, v32 op_sel:[0,1] op_sel_hi:[1,0] neg_lo:[0,1] neg_hi:[0,1]
	v_pk_add_f16 v32, v33, v27 op_sel:[0,1] op_sel_hi:[1,0] neg_lo:[0,1] neg_hi:[0,1]
	v_pk_add_f16 v23, v23, v27 op_sel:[0,1] op_sel_hi:[1,0]
	v_bfi_b32 v27, s2, v32, v23
	v_bfi_b32 v23, s2, v23, v32
	v_pk_fma_f16 v27, v31, s4, v27 op_sel_hi:[1,0,1]
	v_pk_fma_f16 v23, v31, s4, v23 op_sel_hi:[1,0,1]
	ds_write2_b32 v42, v27, v23 offset0:2 offset1:3
	v_bfi_b32 v23, s2, v24, v28
	v_pk_fma_f16 v23, v52, s4, v23 op_sel_hi:[1,0,1]
	ds_write_b32 v42, v23 offset:16
	s_and_saveexec_b64 s[2:3], s[0:1]
	s_cbranch_execz .LBB0_17
; %bb.16:
	s_mov_b32 s4, 0x5040100
	v_lshlrev_b32_e32 v23, 2, v43
	v_perm_b32 v24, v50, v26, s4
	v_perm_b32 v27, v53, v25, s4
	ds_write2_b32 v23, v27, v24 offset1:1
	v_perm_b32 v24, v48, v30, s4
	v_perm_b32 v27, v47, v29, s4
	ds_write2_b32 v23, v27, v24 offset0:2 offset1:3
	v_perm_b32 v24, v55, v54, s4
	ds_write_b32 v23, v24 offset:16
.LBB0_17:
	s_or_b64 exec, exec, s[2:3]
	v_add_u32_e32 v27, 0x780, v35
	s_waitcnt lgkmcnt(0)
	s_barrier
	ds_read2_b32 v[23:24], v35 offset1:245
	ds_read2_b32 v[27:28], v27 offset0:10 offset1:255
	ds_read_b32 v31, v35 offset:3920
	s_and_saveexec_b64 s[2:3], s[0:1]
	s_cbranch_execz .LBB0_19
; %bb.18:
	v_add_u32_e32 v25, 0x2a0, v35
	v_add_u32_e32 v29, 0xa40, v35
	ds_read2_b32 v[25:26], v25 offset0:7 offset1:252
	ds_read2_b32 v[29:30], v29 offset0:9 offset1:254
	ds_read_b32 v54, v35 offset:4620
	s_waitcnt lgkmcnt(1)
	v_lshrrev_b32_e32 v47, 16, v29
	v_lshrrev_b32_e32 v53, 16, v25
	;; [unrolled: 1-line block ×4, first 2 shown]
	s_waitcnt lgkmcnt(0)
	v_lshrrev_b32_e32 v55, 16, v54
.LBB0_19:
	s_or_b64 exec, exec, s[2:3]
	s_waitcnt lgkmcnt(2)
	v_lshrrev_b32_e32 v33, 16, v24
	v_mul_f16_sdwa v49, v4, v33 dst_sel:DWORD dst_unused:UNUSED_PAD src0_sel:WORD_1 src1_sel:DWORD
	s_waitcnt lgkmcnt(1)
	v_lshrrev_b32_e32 v34, 16, v27
	v_fma_f16 v49, v4, v24, v49
	v_mul_f16_sdwa v24, v4, v24 dst_sel:DWORD dst_unused:UNUSED_PAD src0_sel:WORD_1 src1_sel:DWORD
	v_fma_f16 v4, v4, v33, -v24
	v_mul_f16_sdwa v24, v5, v34 dst_sel:DWORD dst_unused:UNUSED_PAD src0_sel:WORD_1 src1_sel:DWORD
	v_lshrrev_b32_e32 v42, 16, v28
	v_fma_f16 v24, v5, v27, v24
	v_mul_f16_sdwa v27, v5, v27 dst_sel:DWORD dst_unused:UNUSED_PAD src0_sel:WORD_1 src1_sel:DWORD
	v_fma_f16 v5, v5, v34, -v27
	v_mul_f16_sdwa v27, v6, v42 dst_sel:DWORD dst_unused:UNUSED_PAD src0_sel:WORD_1 src1_sel:DWORD
	s_waitcnt lgkmcnt(0)
	v_lshrrev_b32_e32 v43, 16, v31
	v_fma_f16 v27, v6, v28, v27
	v_mul_f16_sdwa v28, v6, v28 dst_sel:DWORD dst_unused:UNUSED_PAD src0_sel:WORD_1 src1_sel:DWORD
	v_fma_f16 v6, v6, v42, -v28
	v_mul_f16_sdwa v28, v7, v43 dst_sel:DWORD dst_unused:UNUSED_PAD src0_sel:WORD_1 src1_sel:DWORD
	v_fma_f16 v28, v7, v31, v28
	v_mul_f16_sdwa v31, v7, v31 dst_sel:DWORD dst_unused:UNUSED_PAD src0_sel:WORD_1 src1_sel:DWORD
	v_fma_f16 v7, v7, v43, -v31
	v_add_f16_e32 v33, v24, v27
	v_fma_f16 v33, v33, -0.5, v23
	v_sub_f16_e32 v34, v4, v7
	s_mov_b32 s4, 0xbb9c
	s_movk_i32 s13, 0x3b9c
	v_fma_f16 v42, v34, s4, v33
	v_sub_f16_e32 v43, v5, v6
	s_mov_b32 s5, 0xb8b4
	v_sub_f16_e32 v51, v49, v24
	v_sub_f16_e32 v52, v28, v27
	v_fma_f16 v33, v34, s13, v33
	s_movk_i32 s14, 0x38b4
	v_fma_f16 v42, v43, s5, v42
	v_add_f16_e32 v51, v51, v52
	s_movk_i32 s12, 0x34f2
	v_fma_f16 v33, v43, s14, v33
	v_add_f16_e32 v31, v23, v49
	v_fma_f16 v42, v51, s12, v42
	v_fma_f16 v33, v51, s12, v33
	v_add_f16_e32 v51, v49, v28
	v_lshrrev_b32_e32 v32, 16, v23
	v_add_f16_e32 v31, v31, v24
	v_fma_f16 v23, v51, -0.5, v23
	v_add_f16_e32 v31, v31, v27
	v_fma_f16 v51, v43, s13, v23
	v_fma_f16 v23, v43, s4, v23
	v_add_f16_e32 v43, v5, v6
	v_add_f16_e32 v31, v31, v28
	v_sub_f16_e32 v52, v24, v49
	v_sub_f16_e32 v56, v27, v28
	v_fma_f16 v43, v43, -0.5, v32
	v_sub_f16_e32 v28, v49, v28
	v_fma_f16 v51, v34, s5, v51
	v_add_f16_e32 v52, v52, v56
	v_fma_f16 v23, v34, s14, v23
	v_fma_f16 v49, v28, s13, v43
	v_sub_f16_e32 v24, v24, v27
	v_fma_f16 v51, v52, s12, v51
	v_fma_f16 v23, v52, s12, v23
	;; [unrolled: 1-line block ×3, first 2 shown]
	v_sub_f16_e32 v49, v4, v5
	v_sub_f16_e32 v52, v7, v6
	v_fma_f16 v43, v28, s4, v43
	v_add_f16_e32 v49, v49, v52
	v_fma_f16 v43, v24, s5, v43
	v_add_f16_e32 v34, v32, v4
	v_fma_f16 v27, v49, s12, v27
	v_fma_f16 v43, v49, s12, v43
	v_add_f16_e32 v49, v4, v7
	v_add_f16_e32 v34, v34, v5
	v_fma_f16 v32, v49, -0.5, v32
	v_add_f16_e32 v34, v34, v6
	v_fma_f16 v49, v24, s4, v32
	v_sub_f16_e32 v4, v5, v4
	v_sub_f16_e32 v5, v6, v7
	v_fma_f16 v6, v24, s13, v32
	v_fma_f16 v49, v28, s14, v49
	v_add_f16_e32 v4, v4, v5
	v_fma_f16 v6, v28, s5, v6
	v_fma_f16 v5, v4, s12, v49
	;; [unrolled: 1-line block ×3, first 2 shown]
	v_add_f16_e32 v34, v34, v7
	v_pack_b32_f16 v5, v51, v5
	v_pack_b32_f16 v4, v23, v4
	s_barrier
	v_pack_b32_f16 v6, v31, v34
	v_pack_b32_f16 v7, v42, v27
	ds_write2_b32 v44, v5, v4 offset0:10 offset1:15
	v_pack_b32_f16 v4, v33, v43
	ds_write2_b32 v44, v6, v7 offset1:5
	ds_write_b32 v44, v4 offset:80
	s_and_saveexec_b64 s[2:3], s[0:1]
	s_cbranch_execz .LBB0_21
; %bb.20:
	v_mul_f16_sdwa v4, v1, v29 dst_sel:DWORD dst_unused:UNUSED_PAD src0_sel:WORD_1 src1_sel:DWORD
	v_mul_f16_sdwa v5, v0, v26 dst_sel:DWORD dst_unused:UNUSED_PAD src0_sel:WORD_1 src1_sel:DWORD
	;; [unrolled: 1-line block ×4, first 2 shown]
	v_fma_f16 v4, v1, v47, -v4
	v_fma_f16 v5, v0, v50, -v5
	;; [unrolled: 1-line block ×4, first 2 shown]
	v_sub_f16_e32 v6, v4, v5
	v_sub_f16_e32 v24, v7, v23
	v_add_f16_e32 v6, v6, v24
	v_mul_f16_sdwa v24, v1, v47 dst_sel:DWORD dst_unused:UNUSED_PAD src0_sel:WORD_1 src1_sel:DWORD
	v_fma_f16 v1, v1, v29, v24
	v_mul_f16_sdwa v24, v2, v48 dst_sel:DWORD dst_unused:UNUSED_PAD src0_sel:WORD_1 src1_sel:DWORD
	v_mul_f16_sdwa v29, v0, v50 dst_sel:DWORD dst_unused:UNUSED_PAD src0_sel:WORD_1 src1_sel:DWORD
	v_fma_f16 v2, v2, v30, v24
	v_add_f16_e32 v27, v5, v23
	v_fma_f16 v0, v0, v26, v29
	v_mul_f16_sdwa v26, v3, v55 dst_sel:DWORD dst_unused:UNUSED_PAD src0_sel:WORD_1 src1_sel:DWORD
	v_sub_f16_e32 v24, v1, v2
	v_fma_f16 v27, v27, -0.5, v53
	v_fma_f16 v3, v3, v54, v26
	v_fma_f16 v28, v24, s13, v27
	v_sub_f16_e32 v26, v0, v3
	v_fma_f16 v27, v24, s4, v27
	v_fma_f16 v28, v26, s5, v28
	;; [unrolled: 1-line block ×5, first 2 shown]
	v_sub_f16_e32 v27, v5, v4
	v_sub_f16_e32 v29, v23, v7
	v_add_f16_e32 v27, v27, v29
	v_add_f16_e32 v29, v4, v7
	v_fma_f16 v29, v29, -0.5, v53
	v_fma_f16 v30, v26, s4, v29
	v_fma_f16 v26, v26, s13, v29
	;; [unrolled: 1-line block ×4, first 2 shown]
	v_add_f16_e32 v26, v53, v5
	v_add_f16_e32 v26, v26, v4
	;; [unrolled: 1-line block ×4, first 2 shown]
	v_sub_f16_e32 v5, v5, v23
	v_add_f16_e32 v23, v0, v3
	v_fma_f16 v23, v23, -0.5, v25
	v_sub_f16_e32 v4, v4, v7
	v_fma_f16 v30, v27, s12, v30
	v_fma_f16 v24, v27, s12, v24
	v_sub_f16_e32 v27, v1, v0
	v_sub_f16_e32 v29, v2, v3
	v_fma_f16 v7, v4, s4, v23
	v_fma_f16 v23, v4, s13, v23
	v_add_f16_e32 v27, v27, v29
	v_fma_f16 v7, v5, s14, v7
	v_fma_f16 v23, v5, s5, v23
	;; [unrolled: 1-line block ×4, first 2 shown]
	v_sub_f16_e32 v27, v0, v1
	v_sub_f16_e32 v29, v3, v2
	v_add_f16_e32 v27, v27, v29
	v_add_f16_e32 v29, v1, v2
	v_fma_f16 v29, v29, -0.5, v25
	v_add_f16_e32 v0, v25, v0
	v_fma_f16 v31, v5, s13, v29
	v_fma_f16 v5, v5, s4, v29
	v_add_f16_e32 v0, v0, v1
	v_fma_f16 v31, v4, s14, v31
	v_fma_f16 v4, v4, s5, v5
	v_add_f16_e32 v0, v0, v2
	v_fma_f16 v4, v27, s12, v4
	v_add_f16_e32 v0, v0, v3
	v_lshlrev_b32_e32 v1, 2, v45
	v_pack_b32_f16 v0, v0, v26
	v_pack_b32_f16 v2, v4, v24
	v_fma_f16 v31, v27, s12, v31
	ds_write2_b32 v1, v0, v2 offset1:5
	v_pack_b32_f16 v0, v23, v6
	v_pack_b32_f16 v2, v7, v28
	ds_write2_b32 v1, v0, v2 offset0:10 offset1:15
	v_pack_b32_f16 v0, v31, v30
	ds_write_b32 v1, v0 offset:80
.LBB0_21:
	s_or_b64 exec, exec, s[2:3]
	s_waitcnt lgkmcnt(0)
	s_barrier
	ds_read2_b32 v[0:1], v35 offset1:175
	v_add_u32_e32 v6, 0x500, v35
	ds_read2_b32 v[2:3], v6 offset0:30 offset1:205
	v_add_u32_e32 v7, 0xa00, v35
	ds_read2_b32 v[4:5], v7 offset0:60 offset1:235
	s_waitcnt lgkmcnt(2)
	v_lshrrev_b32_e32 v23, 16, v1
	v_mul_f16_sdwa v30, v8, v23 dst_sel:DWORD dst_unused:UNUSED_PAD src0_sel:WORD_1 src1_sel:DWORD
	s_waitcnt lgkmcnt(1)
	v_lshrrev_b32_e32 v25, 16, v2
	v_fma_f16 v30, v8, v1, v30
	v_mul_f16_sdwa v1, v8, v1 dst_sel:DWORD dst_unused:UNUSED_PAD src0_sel:WORD_1 src1_sel:DWORD
	v_fma_f16 v1, v8, v23, -v1
	v_mul_f16_sdwa v8, v9, v25 dst_sel:DWORD dst_unused:UNUSED_PAD src0_sel:WORD_1 src1_sel:DWORD
	v_lshrrev_b32_e32 v26, 16, v3
	v_fma_f16 v8, v9, v2, v8
	v_mul_f16_sdwa v2, v9, v2 dst_sel:DWORD dst_unused:UNUSED_PAD src0_sel:WORD_1 src1_sel:DWORD
	ds_read_b32 v24, v35 offset:4200
	v_fma_f16 v2, v9, v25, -v2
	v_mul_f16_sdwa v9, v10, v26 dst_sel:DWORD dst_unused:UNUSED_PAD src0_sel:WORD_1 src1_sel:DWORD
	s_waitcnt lgkmcnt(1)
	v_lshrrev_b32_e32 v27, 16, v4
	v_fma_f16 v9, v10, v3, v9
	v_mul_f16_sdwa v3, v10, v3 dst_sel:DWORD dst_unused:UNUSED_PAD src0_sel:WORD_1 src1_sel:DWORD
	v_fma_f16 v3, v10, v26, -v3
	v_mul_f16_sdwa v10, v11, v27 dst_sel:DWORD dst_unused:UNUSED_PAD src0_sel:WORD_1 src1_sel:DWORD
	v_lshrrev_b32_e32 v28, 16, v5
	v_fma_f16 v10, v11, v4, v10
	v_mul_f16_sdwa v4, v11, v4 dst_sel:DWORD dst_unused:UNUSED_PAD src0_sel:WORD_1 src1_sel:DWORD
	v_fma_f16 v4, v11, v27, -v4
	v_mul_f16_sdwa v11, v19, v28 dst_sel:DWORD dst_unused:UNUSED_PAD src0_sel:WORD_1 src1_sel:DWORD
	s_waitcnt lgkmcnt(0)
	v_lshrrev_b32_e32 v29, 16, v24
	v_fma_f16 v11, v19, v5, v11
	v_mul_f16_sdwa v5, v19, v5 dst_sel:DWORD dst_unused:UNUSED_PAD src0_sel:WORD_1 src1_sel:DWORD
	v_fma_f16 v5, v19, v28, -v5
	v_mul_f16_sdwa v19, v20, v29 dst_sel:DWORD dst_unused:UNUSED_PAD src0_sel:WORD_1 src1_sel:DWORD
	v_mul_f16_sdwa v23, v20, v24 dst_sel:DWORD dst_unused:UNUSED_PAD src0_sel:WORD_1 src1_sel:DWORD
	v_fma_f16 v19, v20, v24, v19
	v_fma_f16 v20, v20, v29, -v23
	v_add_f16_e32 v23, v30, v19
	v_add_f16_e32 v24, v1, v20
	v_sub_f16_e32 v1, v1, v20
	v_add_f16_e32 v20, v8, v11
	v_add_f16_e32 v25, v2, v5
	v_sub_f16_e32 v8, v8, v11
	v_sub_f16_e32 v2, v2, v5
	v_add_f16_e32 v5, v9, v10
	v_add_f16_e32 v11, v3, v4
	v_sub_f16_e32 v9, v10, v9
	;; [unrolled: 4-line block ×3, first 2 shown]
	v_sub_f16_e32 v26, v20, v23
	v_sub_f16_e32 v27, v25, v24
	;; [unrolled: 1-line block ×6, first 2 shown]
	v_add_f16_e32 v28, v9, v8
	v_add_f16_e32 v29, v3, v2
	v_sub_f16_e32 v30, v9, v8
	v_sub_f16_e32 v31, v3, v2
	v_add_f16_e32 v4, v5, v4
	v_add_f16_e32 v5, v11, v10
	v_sub_f16_e32 v9, v19, v9
	v_sub_f16_e32 v3, v1, v3
	;; [unrolled: 1-line block ×4, first 2 shown]
	v_add_f16_e32 v10, v28, v19
	v_add_f16_e32 v1, v29, v1
	;; [unrolled: 1-line block ×3, first 2 shown]
	v_add_f16_sdwa v0, v0, v5 dst_sel:DWORD dst_unused:UNUSED_PAD src0_sel:WORD_1 src1_sel:DWORD
	v_mul_f16_e32 v19, 0x3a52, v23
	v_mul_f16_e32 v23, 0x3a52, v24
	s_movk_i32 s2, 0x2b26
	v_mul_f16_e32 v24, 0x2b26, v20
	v_mul_f16_e32 v28, 0x2b26, v25
	;; [unrolled: 1-line block ×4, first 2 shown]
	s_mov_b32 s4, 0xbcab
	s_movk_i32 s5, 0x39e0
	s_mov_b32 s12, 0xb9e0
	s_mov_b32 s13, 0xb574
	;; [unrolled: 1-line block ×3, first 2 shown]
	v_mul_f16_e32 v31, 0xbb00, v8
	v_mul_f16_e32 v32, 0xbb00, v2
	v_fma_f16 v4, v4, s4, v11
	v_fma_f16 v5, v5, s4, v0
	;; [unrolled: 1-line block ×4, first 2 shown]
	v_fma_f16 v24, v26, s5, -v24
	v_fma_f16 v28, v27, s5, -v28
	v_fma_f16 v19, v26, s12, -v19
	v_fma_f16 v23, v27, s12, -v23
	v_fma_f16 v26, v9, s13, v29
	v_fma_f16 v27, v3, s13, v30
	s_movk_i32 s14, 0x3574
	s_mov_b32 s15, 0xb70e
	v_fma_f16 v8, v8, s3, -v29
	v_fma_f16 v2, v2, s3, -v30
	;; [unrolled: 1-line block ×4, first 2 shown]
	v_add_f16_e32 v20, v20, v4
	v_add_f16_e32 v25, v25, v5
	;; [unrolled: 1-line block ×6, first 2 shown]
	v_fma_f16 v19, v10, s15, v26
	v_fma_f16 v23, v1, s15, v27
	;; [unrolled: 1-line block ×6, first 2 shown]
	v_add_f16_e32 v3, v23, v20
	v_sub_f16_e32 v10, v25, v19
	v_add_f16_e32 v26, v1, v4
	v_sub_f16_e32 v27, v5, v9
	v_sub_f16_e32 v29, v24, v2
	v_add_f16_e32 v30, v8, v28
	v_pack_b32_f16 v0, v11, v0
	v_pack_b32_f16 v3, v3, v10
	v_add_f16_e32 v2, v2, v24
	v_sub_f16_e32 v8, v28, v8
	v_sub_f16_e32 v1, v4, v1
	v_add_f16_e32 v4, v9, v5
	s_barrier
	ds_write2_b32 v46, v0, v3 offset1:25
	v_pack_b32_f16 v0, v26, v27
	v_pack_b32_f16 v3, v29, v30
	v_sub_f16_e32 v5, v20, v23
	v_add_f16_e32 v9, v19, v25
	ds_write2_b32 v46, v0, v3 offset0:50 offset1:75
	v_pack_b32_f16 v0, v2, v8
	v_pack_b32_f16 v1, v1, v4
	ds_write2_b32 v46, v0, v1 offset0:100 offset1:125
	v_pack_b32_f16 v0, v5, v9
	ds_write_b32 v46, v0 offset:600
	s_waitcnt lgkmcnt(0)
	s_barrier
	ds_read2_b32 v[0:1], v35 offset1:175
	ds_read2_b32 v[2:3], v6 offset0:30 offset1:205
	ds_read2_b32 v[4:5], v7 offset0:60 offset1:235
	ds_read_b32 v9, v35 offset:4200
	s_movk_i32 s16, 0x1000
	s_waitcnt lgkmcnt(3)
	v_lshrrev_b32_e32 v8, 16, v1
	v_mul_f16_sdwa v24, v12, v8 dst_sel:DWORD dst_unused:UNUSED_PAD src0_sel:WORD_1 src1_sel:DWORD
	s_waitcnt lgkmcnt(2)
	v_lshrrev_b32_e32 v10, 16, v2
	v_fma_f16 v24, v12, v1, v24
	v_mul_f16_sdwa v1, v12, v1 dst_sel:DWORD dst_unused:UNUSED_PAD src0_sel:WORD_1 src1_sel:DWORD
	v_fma_f16 v1, v12, v8, -v1
	v_mul_f16_sdwa v8, v13, v10 dst_sel:DWORD dst_unused:UNUSED_PAD src0_sel:WORD_1 src1_sel:DWORD
	v_lshrrev_b32_e32 v11, 16, v3
	v_fma_f16 v8, v13, v2, v8
	v_mul_f16_sdwa v2, v13, v2 dst_sel:DWORD dst_unused:UNUSED_PAD src0_sel:WORD_1 src1_sel:DWORD
	s_waitcnt lgkmcnt(1)
	v_lshrrev_b32_e32 v20, 16, v5
	s_waitcnt lgkmcnt(0)
	v_lshrrev_b32_e32 v23, 16, v9
	v_fma_f16 v2, v13, v10, -v2
	v_mul_f16_sdwa v10, v14, v11 dst_sel:DWORD dst_unused:UNUSED_PAD src0_sel:WORD_1 src1_sel:DWORD
	v_lshrrev_b32_e32 v19, 16, v4
	v_fma_f16 v10, v14, v3, v10
	v_mul_f16_sdwa v3, v14, v3 dst_sel:DWORD dst_unused:UNUSED_PAD src0_sel:WORD_1 src1_sel:DWORD
	v_mul_f16_sdwa v12, v21, v20 dst_sel:DWORD dst_unused:UNUSED_PAD src0_sel:WORD_1 src1_sel:DWORD
	;; [unrolled: 1-line block ×3, first 2 shown]
	v_fma_f16 v3, v14, v11, -v3
	v_mul_f16_sdwa v11, v15, v19 dst_sel:DWORD dst_unused:UNUSED_PAD src0_sel:WORD_1 src1_sel:DWORD
	v_fma_f16 v12, v21, v5, v12
	v_mul_f16_sdwa v5, v21, v5 dst_sel:DWORD dst_unused:UNUSED_PAD src0_sel:WORD_1 src1_sel:DWORD
	v_fma_f16 v13, v22, v9, v13
	;; [unrolled: 2-line block ×3, first 2 shown]
	v_mul_f16_sdwa v4, v15, v4 dst_sel:DWORD dst_unused:UNUSED_PAD src0_sel:WORD_1 src1_sel:DWORD
	v_fma_f16 v5, v21, v20, -v5
	v_fma_f16 v9, v22, v23, -v9
	;; [unrolled: 1-line block ×3, first 2 shown]
	v_add_f16_e32 v14, v24, v13
	v_add_f16_e32 v15, v1, v9
	v_sub_f16_e32 v1, v1, v9
	v_add_f16_e32 v9, v8, v12
	v_add_f16_e32 v19, v2, v5
	v_sub_f16_e32 v8, v8, v12
	v_sub_f16_e32 v2, v2, v5
	v_add_f16_e32 v5, v10, v11
	v_add_f16_e32 v12, v3, v4
	v_sub_f16_e32 v10, v11, v10
	;; [unrolled: 4-line block ×3, first 2 shown]
	v_sub_f16_e32 v20, v9, v14
	v_sub_f16_e32 v21, v19, v15
	;; [unrolled: 1-line block ×6, first 2 shown]
	v_add_f16_e32 v22, v10, v8
	v_add_f16_e32 v23, v3, v2
	v_sub_f16_e32 v24, v10, v8
	v_sub_f16_e32 v25, v3, v2
	v_add_f16_e32 v4, v5, v4
	v_add_f16_e32 v5, v12, v11
	v_sub_f16_e32 v10, v13, v10
	v_sub_f16_e32 v3, v1, v3
	;; [unrolled: 1-line block ×4, first 2 shown]
	v_add_f16_e32 v11, v22, v13
	v_add_f16_e32 v1, v23, v1
	;; [unrolled: 1-line block ×3, first 2 shown]
	v_add_f16_sdwa v0, v0, v5 dst_sel:DWORD dst_unused:UNUSED_PAD src0_sel:WORD_1 src1_sel:DWORD
	v_mul_f16_e32 v13, 0x3a52, v14
	v_mul_f16_e32 v14, 0x3a52, v15
	;; [unrolled: 1-line block ×8, first 2 shown]
	v_fma_f16 v4, v4, s4, v12
	v_fma_f16 v5, v5, s4, v0
	;; [unrolled: 1-line block ×4, first 2 shown]
	v_fma_f16 v15, v20, s5, -v15
	v_fma_f16 v22, v21, s5, -v22
	;; [unrolled: 1-line block ×4, first 2 shown]
	v_fma_f16 v20, v10, s13, v23
	v_fma_f16 v21, v3, s13, v24
	v_fma_f16 v8, v8, s3, -v23
	v_fma_f16 v2, v2, s3, -v24
	v_fma_f16 v10, v10, s14, -v25
	v_fma_f16 v3, v3, s14, -v26
	v_add_f16_e32 v9, v9, v4
	v_add_f16_e32 v19, v19, v5
	;; [unrolled: 1-line block ×6, first 2 shown]
	v_fma_f16 v13, v11, s15, v20
	v_fma_f16 v14, v1, s15, v21
	;; [unrolled: 1-line block ×6, first 2 shown]
	v_add_f16_e32 v3, v14, v9
	v_sub_f16_e32 v11, v19, v13
	v_add_f16_e32 v20, v1, v4
	v_sub_f16_e32 v21, v5, v10
	v_sub_f16_e32 v23, v15, v2
	v_add_f16_e32 v24, v8, v22
	v_pack_b32_f16 v0, v12, v0
	v_pack_b32_f16 v3, v3, v11
	v_add_f16_e32 v2, v2, v15
	v_sub_f16_e32 v8, v22, v8
	v_sub_f16_e32 v1, v4, v1
	v_add_f16_e32 v4, v10, v5
	ds_write2_b32 v35, v0, v3 offset1:175
	v_pack_b32_f16 v0, v20, v21
	v_pack_b32_f16 v3, v23, v24
	v_sub_f16_e32 v5, v9, v14
	v_add_f16_e32 v9, v13, v19
	ds_write2_b32 v6, v0, v3 offset0:30 offset1:205
	v_pack_b32_f16 v0, v2, v8
	v_pack_b32_f16 v1, v1, v4
	ds_write2_b32 v7, v0, v1 offset0:60 offset1:235
	v_pack_b32_f16 v0, v5, v9
	ds_write_b32 v35, v0 offset:4200
	s_waitcnt lgkmcnt(0)
	s_barrier
	ds_read2_b32 v[0:1], v35 offset1:245
	s_mov_b32 s12, 0xe03c2fa6
	s_mov_b32 s13, 0x3f4abfd7
	v_mad_u64_u32 v[3:4], s[2:3], s10, v18, 0
	s_waitcnt lgkmcnt(0)
	v_lshrrev_b32_e32 v9, 16, v0
	v_mul_f16_sdwa v2, v41, v9 dst_sel:DWORD dst_unused:UNUSED_PAD src0_sel:WORD_1 src1_sel:DWORD
	v_fma_f16 v2, v41, v0, v2
	v_cvt_f32_f16_e32 v2, v2
	s_movk_i32 s10, 0x1ff
	v_mul_f16_sdwa v0, v41, v0 dst_sel:DWORD dst_unused:UNUSED_PAD src0_sel:WORD_1 src1_sel:DWORD
	v_fma_f16 v0, v41, v9, -v0
	v_cvt_f64_f32_e32 v[5:6], v2
	v_mov_b32_e32 v2, v4
	v_mad_u64_u32 v[7:8], s[2:3], s11, v18, v[2:3]
	v_mul_f64 v[5:6], v[5:6], s[12:13]
	s_movk_i32 s11, 0xffe
	v_mov_b32_e32 v4, v7
	v_cvt_f32_f16_e32 v0, v0
	s_movk_i32 s14, 0x40f
	s_mov_b32 s15, 0x8000
	v_lshlrev_b64 v[3:4], 2, v[3:4]
	v_and_or_b32 v2, v6, s10, v5
	v_cmp_ne_u32_e32 vcc, 0, v2
	v_cndmask_b32_e64 v2, 0, 1, vcc
	v_lshrrev_b32_e32 v5, 8, v6
	v_bfe_u32 v7, v6, 20, 11
	v_and_or_b32 v5, v5, s11, v2
	v_sub_u32_e32 v8, 0x3f1, v7
	v_or_b32_e32 v2, 0x1000, v5
	v_med3_i32 v8, v8, 0, 13
	v_lshrrev_b32_e32 v10, v8, v2
	v_lshlrev_b32_e32 v8, v8, v10
	v_cmp_ne_u32_e32 vcc, v8, v2
	v_cndmask_b32_e64 v2, 0, 1, vcc
	v_or_b32_e32 v2, v10, v2
	v_add_u32_e32 v10, 0xfffffc10, v7
	v_lshl_or_b32 v7, v10, 12, v5
	v_cmp_gt_i32_e32 vcc, 1, v10
	v_cndmask_b32_e32 v2, v7, v2, vcc
	v_and_b32_e32 v7, 7, v2
	v_cmp_lt_i32_e32 vcc, 5, v7
	v_cmp_eq_u32_e64 s[2:3], 3, v7
	v_cvt_f64_f32_e32 v[7:8], v0
	v_lshrrev_b32_e32 v2, 2, v2
	s_or_b64 vcc, s[2:3], vcc
	v_addc_co_u32_e32 v9, vcc, 0, v2, vcc
	v_mul_f64 v[7:8], v[7:8], s[12:13]
	v_mov_b32_e32 v2, 0x7c00
	v_cmp_gt_i32_e32 vcc, 31, v10
	v_cndmask_b32_e32 v0, v2, v9, vcc
	v_cmp_ne_u32_e32 vcc, 0, v5
	v_cndmask_b32_e64 v5, 0, 1, vcc
	v_lshl_or_b32 v5, v5, 9, v2
	v_cmp_eq_u32_e32 vcc, s14, v10
	v_cndmask_b32_e32 v0, v0, v5, vcc
	v_lshrrev_b32_e32 v5, 16, v6
	v_and_or_b32 v9, v5, s15, v0
	v_and_or_b32 v0, v8, s10, v7
	v_cmp_ne_u32_e32 vcc, 0, v0
	v_cndmask_b32_e64 v0, 0, 1, vcc
	v_lshrrev_b32_e32 v5, 8, v8
	v_bfe_u32 v6, v8, 20, 11
	v_and_or_b32 v0, v5, s11, v0
	v_sub_u32_e32 v7, 0x3f1, v6
	v_or_b32_e32 v5, 0x1000, v0
	v_med3_i32 v7, v7, 0, 13
	v_lshrrev_b32_e32 v10, v7, v5
	v_lshlrev_b32_e32 v7, v7, v10
	v_cmp_ne_u32_e32 vcc, v7, v5
	v_cndmask_b32_e64 v5, 0, 1, vcc
	v_add_u32_e32 v7, 0xfffffc10, v6
	v_or_b32_e32 v5, v10, v5
	v_lshl_or_b32 v6, v7, 12, v0
	v_cmp_gt_i32_e32 vcc, 1, v7
	v_cndmask_b32_e32 v5, v6, v5, vcc
	v_and_b32_e32 v6, 7, v5
	v_cmp_lt_i32_e32 vcc, 5, v6
	v_cmp_eq_u32_e64 s[2:3], 3, v6
	v_lshrrev_b32_e32 v5, 2, v5
	s_or_b64 vcc, s[2:3], vcc
	v_addc_co_u32_e32 v5, vcc, 0, v5, vcc
	v_cmp_gt_i32_e32 vcc, 31, v7
	v_cndmask_b32_e32 v10, v2, v5, vcc
	v_mad_u64_u32 v[5:6], s[2:3], s8, v40, 0
	v_cmp_ne_u32_e32 vcc, 0, v0
	v_cndmask_b32_e64 v0, 0, 1, vcc
	v_lshl_or_b32 v0, v0, 9, v2
	v_cmp_eq_u32_e32 vcc, s14, v7
	v_cndmask_b32_e32 v10, v10, v0, vcc
	v_mov_b32_e32 v0, v6
	v_mad_u64_u32 v[6:7], s[2:3], s9, v40, v[0:1]
	v_lshrrev_b32_e32 v0, 16, v1
	v_mul_f16_sdwa v7, v39, v0 dst_sel:DWORD dst_unused:UNUSED_PAD src0_sel:WORD_1 src1_sel:DWORD
	v_fma_f16 v7, v39, v1, v7
	v_cvt_f32_f16_e32 v7, v7
	v_lshrrev_b32_e32 v8, 16, v8
	v_and_or_b32 v10, v8, s15, v10
	v_and_b32_e32 v9, 0xffff, v9
	v_cvt_f64_f32_e32 v[7:8], v7
	v_lshl_or_b32 v9, v10, 16, v9
	v_mov_b32_e32 v10, s7
	v_add_co_u32_e32 v11, vcc, s6, v3
	v_mul_f64 v[7:8], v[7:8], s[12:13]
	v_addc_co_u32_e32 v10, vcc, v10, v4, vcc
	v_lshlrev_b64 v[3:4], 2, v[5:6]
	v_mul_f16_sdwa v1, v39, v1 dst_sel:DWORD dst_unused:UNUSED_PAD src0_sel:WORD_1 src1_sel:DWORD
	v_add_co_u32_e32 v3, vcc, v11, v3
	v_addc_co_u32_e32 v4, vcc, v10, v4, vcc
	v_and_or_b32 v5, v8, s10, v7
	v_cmp_ne_u32_e32 vcc, 0, v5
	v_fma_f16 v0, v39, v0, -v1
	v_cndmask_b32_e64 v5, 0, 1, vcc
	v_lshrrev_b32_e32 v6, 8, v8
	v_bfe_u32 v7, v8, 20, 11
	v_cvt_f32_f16_e32 v0, v0
	global_store_dword v[3:4], v9, off
	v_and_or_b32 v5, v6, s11, v5
	v_sub_u32_e32 v9, 0x3f1, v7
	v_or_b32_e32 v6, 0x1000, v5
	v_med3_i32 v9, v9, 0, 13
	v_lshrrev_b32_e32 v10, v9, v6
	v_lshlrev_b32_e32 v9, v9, v10
	v_cvt_f64_f32_e32 v[0:1], v0
	v_cmp_ne_u32_e32 vcc, v9, v6
	v_cndmask_b32_e64 v6, 0, 1, vcc
	v_add_u32_e32 v7, 0xfffffc10, v7
	v_or_b32_e32 v6, v10, v6
	v_lshl_or_b32 v9, v7, 12, v5
	v_cmp_gt_i32_e32 vcc, 1, v7
	v_cndmask_b32_e32 v6, v9, v6, vcc
	v_mul_f64 v[0:1], v[0:1], s[12:13]
	v_and_b32_e32 v9, 7, v6
	v_cmp_lt_i32_e32 vcc, 5, v9
	v_cmp_eq_u32_e64 s[2:3], 3, v9
	v_lshrrev_b32_e32 v6, 2, v6
	s_or_b64 vcc, s[2:3], vcc
	v_addc_co_u32_e32 v6, vcc, 0, v6, vcc
	v_cmp_gt_i32_e32 vcc, 31, v7
	v_cndmask_b32_e32 v6, v2, v6, vcc
	v_cmp_ne_u32_e32 vcc, 0, v5
	v_cndmask_b32_e64 v5, 0, 1, vcc
	v_lshl_or_b32 v5, v5, 9, v2
	v_cmp_eq_u32_e32 vcc, s14, v7
	v_and_or_b32 v0, v1, s10, v0
	v_cndmask_b32_e32 v5, v6, v5, vcc
	v_lshrrev_b32_e32 v6, 16, v8
	v_cmp_ne_u32_e32 vcc, 0, v0
	v_and_or_b32 v7, v6, s15, v5
	v_cndmask_b32_e64 v0, 0, 1, vcc
	v_lshrrev_b32_e32 v5, 8, v1
	v_bfe_u32 v6, v1, 20, 11
	v_and_or_b32 v0, v5, s11, v0
	v_sub_u32_e32 v8, 0x3f1, v6
	v_or_b32_e32 v5, 0x1000, v0
	v_med3_i32 v8, v8, 0, 13
	v_lshrrev_b32_e32 v9, v8, v5
	v_lshlrev_b32_e32 v8, v8, v9
	v_cmp_ne_u32_e32 vcc, v8, v5
	v_cndmask_b32_e64 v5, 0, 1, vcc
	v_add_u32_e32 v8, 0xfffffc10, v6
	v_or_b32_e32 v5, v9, v5
	v_lshl_or_b32 v6, v8, 12, v0
	v_cmp_gt_i32_e32 vcc, 1, v8
	v_cndmask_b32_e32 v5, v6, v5, vcc
	v_and_b32_e32 v6, 7, v5
	v_cmp_lt_i32_e32 vcc, 5, v6
	v_cmp_eq_u32_e64 s[2:3], 3, v6
	v_lshrrev_b32_e32 v5, 2, v5
	s_or_b64 vcc, s[2:3], vcc
	v_addc_co_u32_e32 v5, vcc, 0, v5, vcc
	v_cmp_gt_i32_e32 vcc, 31, v8
	v_cndmask_b32_e32 v9, v2, v5, vcc
	v_add_u32_e32 v5, 0x780, v35
	ds_read2_b32 v[5:6], v5 offset0:10 offset1:255
	v_cmp_ne_u32_e32 vcc, 0, v0
	v_cndmask_b32_e64 v0, 0, 1, vcc
	v_lshl_or_b32 v0, v0, 9, v2
	v_cmp_eq_u32_e32 vcc, s14, v8
	v_cndmask_b32_e32 v0, v9, v0, vcc
	v_lshrrev_b32_e32 v1, 16, v1
	s_waitcnt lgkmcnt(0)
	v_lshrrev_b32_e32 v9, 16, v5
	v_and_or_b32 v8, v1, s15, v0
	v_mul_f16_sdwa v0, v38, v9 dst_sel:DWORD dst_unused:UNUSED_PAD src0_sel:WORD_1 src1_sel:DWORD
	v_fma_f16 v0, v38, v5, v0
	v_cvt_f32_f16_e32 v0, v0
	s_mul_i32 s2, s9, 0xf5
	s_mul_hi_u32 s3, s8, 0xf5
	s_add_i32 s3, s3, s2
	v_cvt_f64_f32_e32 v[0:1], v0
	s_mul_i32 s2, s8, 0xf5
	s_lshl_b64 s[6:7], s[2:3], 2
	v_mov_b32_e32 v10, s7
	v_mul_f64 v[0:1], v[0:1], s[12:13]
	v_add_co_u32_e32 v3, vcc, s6, v3
	v_and_b32_e32 v7, 0xffff, v7
	v_addc_co_u32_e32 v4, vcc, v4, v10, vcc
	v_lshl_or_b32 v7, v8, 16, v7
	global_store_dword v[3:4], v7, off
	v_and_or_b32 v0, v1, s10, v0
	v_cmp_ne_u32_e32 vcc, 0, v0
	v_cndmask_b32_e64 v0, 0, 1, vcc
	v_lshrrev_b32_e32 v7, 8, v1
	v_bfe_u32 v8, v1, 20, 11
	v_and_or_b32 v0, v7, s11, v0
	v_sub_u32_e32 v11, 0x3f1, v8
	v_or_b32_e32 v7, 0x1000, v0
	v_med3_i32 v11, v11, 0, 13
	v_lshrrev_b32_e32 v12, v11, v7
	v_lshlrev_b32_e32 v11, v11, v12
	v_mul_f16_sdwa v5, v38, v5 dst_sel:DWORD dst_unused:UNUSED_PAD src0_sel:WORD_1 src1_sel:DWORD
	v_cmp_ne_u32_e32 vcc, v11, v7
	v_fma_f16 v5, v38, v9, -v5
	v_cndmask_b32_e64 v7, 0, 1, vcc
	v_add_u32_e32 v11, 0xfffffc10, v8
	v_cvt_f32_f16_e32 v5, v5
	v_or_b32_e32 v7, v12, v7
	v_lshl_or_b32 v8, v11, 12, v0
	v_cmp_gt_i32_e32 vcc, 1, v11
	v_cndmask_b32_e32 v7, v8, v7, vcc
	v_and_b32_e32 v8, 7, v7
	v_cmp_lt_i32_e32 vcc, 5, v8
	v_cmp_eq_u32_e64 s[2:3], 3, v8
	v_lshrrev_b32_e32 v9, 2, v7
	v_cvt_f64_f32_e32 v[7:8], v5
	s_or_b64 vcc, s[2:3], vcc
	v_addc_co_u32_e32 v5, vcc, 0, v9, vcc
	v_mul_f64 v[7:8], v[7:8], s[12:13]
	v_cmp_gt_i32_e32 vcc, 31, v11
	v_cndmask_b32_e32 v5, v2, v5, vcc
	v_cmp_ne_u32_e32 vcc, 0, v0
	v_cndmask_b32_e64 v0, 0, 1, vcc
	v_lshl_or_b32 v0, v0, 9, v2
	v_cmp_eq_u32_e32 vcc, s14, v11
	v_cndmask_b32_e32 v0, v5, v0, vcc
	v_lshrrev_b32_e32 v1, 16, v1
	v_and_or_b32 v5, v1, s15, v0
	v_and_or_b32 v0, v8, s10, v7
	v_cmp_ne_u32_e32 vcc, 0, v0
	v_cndmask_b32_e64 v0, 0, 1, vcc
	v_lshrrev_b32_e32 v1, 8, v8
	v_bfe_u32 v7, v8, 20, 11
	v_and_or_b32 v0, v1, s11, v0
	v_sub_u32_e32 v9, 0x3f1, v7
	v_or_b32_e32 v1, 0x1000, v0
	v_med3_i32 v9, v9, 0, 13
	v_lshrrev_b32_e32 v11, v9, v1
	v_lshlrev_b32_e32 v9, v9, v11
	v_cmp_ne_u32_e32 vcc, v9, v1
	v_cndmask_b32_e64 v1, 0, 1, vcc
	v_add_u32_e32 v7, 0xfffffc10, v7
	v_or_b32_e32 v1, v11, v1
	v_lshl_or_b32 v9, v7, 12, v0
	v_cmp_gt_i32_e32 vcc, 1, v7
	v_cndmask_b32_e32 v1, v9, v1, vcc
	v_and_b32_e32 v9, 7, v1
	v_cmp_lt_i32_e32 vcc, 5, v9
	v_cmp_eq_u32_e64 s[2:3], 3, v9
	v_lshrrev_b32_e32 v1, 2, v1
	s_or_b64 vcc, s[2:3], vcc
	v_addc_co_u32_e32 v1, vcc, 0, v1, vcc
	v_cmp_gt_i32_e32 vcc, 31, v7
	v_lshrrev_b32_e32 v11, 16, v6
	v_cndmask_b32_e32 v9, v2, v1, vcc
	v_mul_f16_sdwa v1, v37, v11 dst_sel:DWORD dst_unused:UNUSED_PAD src0_sel:WORD_1 src1_sel:DWORD
	v_fma_f16 v1, v37, v6, v1
	v_cvt_f32_f16_e32 v1, v1
	v_cmp_ne_u32_e32 vcc, 0, v0
	v_cndmask_b32_e64 v0, 0, 1, vcc
	v_lshl_or_b32 v12, v0, 9, v2
	v_cvt_f64_f32_e32 v[0:1], v1
	v_cmp_eq_u32_e32 vcc, s14, v7
	v_cndmask_b32_e32 v7, v9, v12, vcc
	v_lshrrev_b32_e32 v8, 16, v8
	v_mul_f64 v[0:1], v[0:1], s[12:13]
	v_add_co_u32_e32 v3, vcc, s6, v3
	v_and_or_b32 v7, v8, s15, v7
	v_and_b32_e32 v5, 0xffff, v5
	v_addc_co_u32_e32 v4, vcc, v4, v10, vcc
	v_lshl_or_b32 v5, v7, 16, v5
	v_and_or_b32 v0, v1, s10, v0
	v_cmp_ne_u32_e32 vcc, 0, v0
	global_store_dword v[3:4], v5, off
	v_cndmask_b32_e64 v0, 0, 1, vcc
	v_lshrrev_b32_e32 v5, 8, v1
	v_bfe_u32 v7, v1, 20, 11
	v_and_or_b32 v0, v5, s11, v0
	v_sub_u32_e32 v8, 0x3f1, v7
	v_or_b32_e32 v5, 0x1000, v0
	v_med3_i32 v8, v8, 0, 13
	v_lshrrev_b32_e32 v9, v8, v5
	v_lshlrev_b32_e32 v8, v8, v9
	v_mul_f16_sdwa v6, v37, v6 dst_sel:DWORD dst_unused:UNUSED_PAD src0_sel:WORD_1 src1_sel:DWORD
	v_cmp_ne_u32_e32 vcc, v8, v5
	v_fma_f16 v6, v37, v11, -v6
	v_cndmask_b32_e64 v5, 0, 1, vcc
	v_add_u32_e32 v7, 0xfffffc10, v7
	v_cvt_f32_f16_e32 v6, v6
	v_or_b32_e32 v5, v9, v5
	v_lshl_or_b32 v8, v7, 12, v0
	v_cmp_gt_i32_e32 vcc, 1, v7
	v_cndmask_b32_e32 v5, v8, v5, vcc
	v_and_b32_e32 v8, 7, v5
	v_cmp_lt_i32_e32 vcc, 5, v8
	v_cmp_eq_u32_e64 s[2:3], 3, v8
	v_lshrrev_b32_e32 v8, 2, v5
	v_cvt_f64_f32_e32 v[5:6], v6
	s_or_b64 vcc, s[2:3], vcc
	v_addc_co_u32_e32 v8, vcc, 0, v8, vcc
	v_mul_f64 v[5:6], v[5:6], s[12:13]
	v_cmp_gt_i32_e32 vcc, 31, v7
	v_cndmask_b32_e32 v8, v2, v8, vcc
	v_cmp_ne_u32_e32 vcc, 0, v0
	v_cndmask_b32_e64 v0, 0, 1, vcc
	v_lshl_or_b32 v0, v0, 9, v2
	v_cmp_eq_u32_e32 vcc, s14, v7
	v_cndmask_b32_e32 v0, v8, v0, vcc
	v_lshrrev_b32_e32 v1, 16, v1
	v_and_or_b32 v7, v1, s15, v0
	v_and_or_b32 v0, v6, s10, v5
	v_cmp_ne_u32_e32 vcc, 0, v0
	v_cndmask_b32_e64 v0, 0, 1, vcc
	v_lshrrev_b32_e32 v1, 8, v6
	v_bfe_u32 v5, v6, 20, 11
	v_and_or_b32 v0, v1, s11, v0
	v_sub_u32_e32 v8, 0x3f1, v5
	v_or_b32_e32 v1, 0x1000, v0
	v_med3_i32 v8, v8, 0, 13
	v_lshrrev_b32_e32 v9, v8, v1
	v_lshlrev_b32_e32 v8, v8, v9
	v_cmp_ne_u32_e32 vcc, v8, v1
	v_cndmask_b32_e64 v1, 0, 1, vcc
	v_add_u32_e32 v5, 0xfffffc10, v5
	v_or_b32_e32 v1, v9, v1
	v_lshl_or_b32 v8, v5, 12, v0
	v_cmp_gt_i32_e32 vcc, 1, v5
	v_cndmask_b32_e32 v1, v8, v1, vcc
	v_and_b32_e32 v8, 7, v1
	v_cmp_lt_i32_e32 vcc, 5, v8
	v_cmp_eq_u32_e64 s[2:3], 3, v8
	ds_read_b32 v8, v35 offset:3920
	v_lshrrev_b32_e32 v1, 2, v1
	s_or_b64 vcc, s[2:3], vcc
	v_addc_co_u32_e32 v1, vcc, 0, v1, vcc
	v_cmp_gt_i32_e32 vcc, 31, v5
	s_waitcnt lgkmcnt(0)
	v_lshrrev_b32_e32 v11, 16, v8
	v_cndmask_b32_e32 v9, v2, v1, vcc
	v_mul_f16_sdwa v1, v36, v11 dst_sel:DWORD dst_unused:UNUSED_PAD src0_sel:WORD_1 src1_sel:DWORD
	v_fma_f16 v1, v36, v8, v1
	v_cvt_f32_f16_e32 v1, v1
	v_cmp_ne_u32_e32 vcc, 0, v0
	v_cndmask_b32_e64 v0, 0, 1, vcc
	v_lshl_or_b32 v12, v0, 9, v2
	v_cvt_f64_f32_e32 v[0:1], v1
	v_cmp_eq_u32_e32 vcc, s14, v5
	v_cndmask_b32_e32 v5, v9, v12, vcc
	v_lshrrev_b32_e32 v6, 16, v6
	v_mul_f64 v[0:1], v[0:1], s[12:13]
	v_add_co_u32_e32 v3, vcc, s6, v3
	v_and_or_b32 v5, v6, s15, v5
	v_and_b32_e32 v6, 0xffff, v7
	v_addc_co_u32_e32 v4, vcc, v4, v10, vcc
	v_lshl_or_b32 v5, v5, 16, v6
	v_and_or_b32 v0, v1, s10, v0
	v_cmp_ne_u32_e32 vcc, 0, v0
	global_store_dword v[3:4], v5, off
	v_cndmask_b32_e64 v0, 0, 1, vcc
	v_lshrrev_b32_e32 v5, 8, v1
	v_bfe_u32 v6, v1, 20, 11
	v_and_or_b32 v0, v5, s11, v0
	v_sub_u32_e32 v7, 0x3f1, v6
	v_or_b32_e32 v5, 0x1000, v0
	v_med3_i32 v7, v7, 0, 13
	v_lshrrev_b32_e32 v9, v7, v5
	v_lshlrev_b32_e32 v7, v7, v9
	v_mul_f16_sdwa v8, v36, v8 dst_sel:DWORD dst_unused:UNUSED_PAD src0_sel:WORD_1 src1_sel:DWORD
	v_cmp_ne_u32_e32 vcc, v7, v5
	v_fma_f16 v8, v36, v11, -v8
	v_cndmask_b32_e64 v5, 0, 1, vcc
	v_add_u32_e32 v7, 0xfffffc10, v6
	v_cvt_f32_f16_e32 v8, v8
	v_or_b32_e32 v5, v9, v5
	v_lshl_or_b32 v6, v7, 12, v0
	v_cmp_gt_i32_e32 vcc, 1, v7
	v_cndmask_b32_e32 v5, v6, v5, vcc
	v_and_b32_e32 v6, 7, v5
	v_cmp_lt_i32_e32 vcc, 5, v6
	v_cmp_eq_u32_e64 s[2:3], 3, v6
	v_lshrrev_b32_e32 v9, 2, v5
	v_cvt_f64_f32_e32 v[5:6], v8
	s_or_b64 vcc, s[2:3], vcc
	v_addc_co_u32_e32 v8, vcc, 0, v9, vcc
	v_mul_f64 v[5:6], v[5:6], s[12:13]
	v_cmp_gt_i32_e32 vcc, 31, v7
	v_cndmask_b32_e32 v8, v2, v8, vcc
	v_cmp_ne_u32_e32 vcc, 0, v0
	v_cndmask_b32_e64 v0, 0, 1, vcc
	v_lshl_or_b32 v0, v0, 9, v2
	v_cmp_eq_u32_e32 vcc, s14, v7
	v_cndmask_b32_e32 v0, v8, v0, vcc
	v_lshrrev_b32_e32 v1, 16, v1
	v_and_or_b32 v0, v1, s15, v0
	v_and_or_b32 v1, v6, s10, v5
	v_cmp_ne_u32_e32 vcc, 0, v1
	v_cndmask_b32_e64 v1, 0, 1, vcc
	v_lshrrev_b32_e32 v5, 8, v6
	v_bfe_u32 v7, v6, 20, 11
	v_and_or_b32 v1, v5, s11, v1
	v_sub_u32_e32 v8, 0x3f1, v7
	v_or_b32_e32 v5, 0x1000, v1
	v_med3_i32 v8, v8, 0, 13
	v_lshrrev_b32_e32 v9, v8, v5
	v_lshlrev_b32_e32 v8, v8, v9
	v_cmp_ne_u32_e32 vcc, v8, v5
	v_cndmask_b32_e64 v5, 0, 1, vcc
	v_add_u32_e32 v7, 0xfffffc10, v7
	v_or_b32_e32 v5, v9, v5
	v_lshl_or_b32 v8, v7, 12, v1
	v_cmp_gt_i32_e32 vcc, 1, v7
	v_cndmask_b32_e32 v5, v8, v5, vcc
	v_and_b32_e32 v8, 7, v5
	v_cmp_lt_i32_e32 vcc, 5, v8
	v_cmp_eq_u32_e64 s[2:3], 3, v8
	v_lshrrev_b32_e32 v5, 2, v5
	s_or_b64 vcc, s[2:3], vcc
	v_addc_co_u32_e32 v5, vcc, 0, v5, vcc
	v_cmp_gt_i32_e32 vcc, 31, v7
	v_cndmask_b32_e32 v5, v2, v5, vcc
	v_cmp_ne_u32_e32 vcc, 0, v1
	v_cndmask_b32_e64 v1, 0, 1, vcc
	v_lshl_or_b32 v1, v1, 9, v2
	v_cmp_eq_u32_e32 vcc, s14, v7
	v_cndmask_b32_e32 v1, v5, v1, vcc
	v_lshrrev_b32_e32 v5, 16, v6
	v_and_or_b32 v1, v5, s15, v1
	v_and_b32_e32 v0, 0xffff, v0
	v_lshl_or_b32 v5, v1, 16, v0
	v_add_co_u32_e32 v0, vcc, s6, v3
	v_addc_co_u32_e32 v1, vcc, v4, v10, vcc
	global_store_dword v[0:1], v5, off
	s_and_b64 exec, exec, s[0:1]
	s_cbranch_execz .LBB0_23
; %bb.22:
	global_load_dword v5, v[16:17], off offset:700
	global_load_dword v11, v[16:17], off offset:1680
	v_add_u32_e32 v3, 0x2a0, v35
	ds_read2_b32 v[3:4], v3 offset0:7 offset1:252
	global_load_dword v12, v[16:17], off offset:2660
	global_load_dword v13, v[16:17], off offset:3640
	v_mov_b32_e32 v9, 0xfffff36c
	v_mad_u64_u32 v[0:1], s[0:1], s8, v9, v[0:1]
	s_waitcnt lgkmcnt(0)
	v_lshrrev_b32_e32 v6, 16, v3
	v_lshrrev_b32_e32 v14, 16, v4
	s_mul_i32 s2, s9, 0xfffff36c
	s_sub_i32 s0, s2, s8
	v_add_u32_e32 v1, s0, v1
	s_waitcnt vmcnt(3)
	v_mul_f16_sdwa v7, v6, v5 dst_sel:DWORD dst_unused:UNUSED_PAD src0_sel:DWORD src1_sel:WORD_1
	v_mul_f16_sdwa v8, v3, v5 dst_sel:DWORD dst_unused:UNUSED_PAD src0_sel:DWORD src1_sel:WORD_1
	v_fma_f16 v3, v3, v5, v7
	v_cvt_f32_f16_e32 v3, v3
	s_waitcnt vmcnt(2)
	v_mul_f16_sdwa v7, v14, v11 dst_sel:DWORD dst_unused:UNUSED_PAD src0_sel:DWORD src1_sel:WORD_1
	v_fma_f16 v5, v5, v6, -v8
	v_cvt_f32_f16_e32 v8, v5
	v_cvt_f64_f32_e32 v[5:6], v3
	v_fma_f16 v3, v4, v11, v7
	v_cvt_f32_f16_e32 v3, v3
	v_cvt_f64_f32_e32 v[7:8], v8
	v_mul_f64 v[5:6], v[5:6], s[12:13]
	v_mul_f16_sdwa v4, v4, v11 dst_sel:DWORD dst_unused:UNUSED_PAD src0_sel:DWORD src1_sel:WORD_1
	v_cvt_f64_f32_e32 v[9:10], v3
	v_mul_f64 v[7:8], v[7:8], s[12:13]
	v_fma_f16 v4, v11, v14, -v4
	v_cvt_f32_f16_e32 v4, v4
	v_mul_f64 v[9:10], v[9:10], s[12:13]
	v_and_or_b32 v3, v6, s10, v5
	v_cmp_ne_u32_e32 vcc, 0, v3
	v_lshrrev_b32_e32 v5, 8, v6
	v_and_or_b32 v7, v8, s10, v7
	v_bfe_u32 v15, v6, 20, 11
	v_cndmask_b32_e64 v3, 0, 1, vcc
	v_and_or_b32 v9, v10, s10, v9
	v_cmp_ne_u32_e32 vcc, 0, v7
	v_lshrrev_b32_e32 v18, 8, v8
	v_bfe_u32 v19, v8, 20, 11
	v_bfe_u32 v21, v10, 20, 11
	v_sub_u32_e32 v22, 0x3f1, v15
	v_cndmask_b32_e64 v7, 0, 1, vcc
	v_cmp_ne_u32_e32 vcc, 0, v9
	v_and_or_b32 v3, v5, s11, v3
	v_lshrrev_b32_e32 v20, 8, v10
	v_sub_u32_e32 v23, 0x3f1, v19
	v_cndmask_b32_e64 v9, 0, 1, vcc
	v_sub_u32_e32 v24, 0x3f1, v21
	v_med3_i32 v5, v22, 0, 13
	v_and_or_b32 v7, v18, s11, v7
	v_or_b32_e32 v22, 0x1000, v3
	v_add_u32_e32 v15, 0xfffffc10, v15
	v_med3_i32 v18, v23, 0, 13
	v_and_or_b32 v9, v20, s11, v9
	v_med3_i32 v20, v24, 0, 13
	v_cmp_ne_u32_e32 vcc, 0, v3
	v_or_b32_e32 v24, 0x1000, v7
	v_lshrrev_b32_e32 v28, v5, v22
	v_add_u32_e32 v19, 0xfffffc10, v19
	v_lshl_or_b32 v23, v15, 12, v3
	v_cndmask_b32_e64 v3, 0, 1, vcc
	v_cmp_ne_u32_e32 vcc, 0, v7
	v_or_b32_e32 v26, 0x1000, v9
	v_lshrrev_b32_e32 v29, v18, v24
	v_lshlrev_b32_e32 v5, v5, v28
	v_lshl_or_b32 v25, v19, 12, v7
	v_cndmask_b32_e64 v7, 0, 1, vcc
	v_lshrrev_b32_e32 v30, v20, v26
	v_lshlrev_b32_e32 v18, v18, v29
	v_cmp_ne_u32_e32 vcc, v5, v22
	v_lshlrev_b32_e32 v20, v20, v30
	v_cndmask_b32_e64 v5, 0, 1, vcc
	v_cmp_ne_u32_e32 vcc, v18, v24
	v_cndmask_b32_e64 v18, 0, 1, vcc
	v_cmp_ne_u32_e32 vcc, v20, v26
	v_cndmask_b32_e64 v20, 0, 1, vcc
	v_or_b32_e32 v5, v28, v5
	v_cmp_gt_i32_e32 vcc, 1, v15
	v_cndmask_b32_e32 v5, v23, v5, vcc
	v_or_b32_e32 v18, v29, v18
	v_cmp_gt_i32_e32 vcc, 1, v19
	v_and_b32_e32 v22, 7, v5
	v_cndmask_b32_e32 v18, v25, v18, vcc
	v_cmp_lt_i32_e32 vcc, 5, v22
	v_cmp_eq_u32_e64 s[0:1], 3, v22
	v_lshrrev_b32_e32 v5, 2, v5
	v_and_b32_e32 v23, 7, v18
	s_or_b64 vcc, s[0:1], vcc
	v_cmp_lt_i32_e64 s[2:3], 5, v23
	v_cmp_eq_u32_e64 s[4:5], 3, v23
	v_addc_co_u32_e32 v5, vcc, 0, v5, vcc
	v_lshrrev_b32_e32 v18, 2, v18
	s_or_b64 vcc, s[4:5], s[2:3]
	v_addc_co_u32_e32 v18, vcc, 0, v18, vcc
	v_cmp_gt_i32_e32 vcc, 31, v15
	v_cndmask_b32_e32 v5, v2, v5, vcc
	v_cmp_gt_i32_e32 vcc, 31, v19
	v_lshl_or_b32 v3, v3, 9, v2
	v_cndmask_b32_e32 v18, v2, v18, vcc
	v_cmp_eq_u32_e32 vcc, s14, v15
	v_lshrrev_b32_e32 v6, 16, v6
	v_lshl_or_b32 v7, v7, 9, v2
	v_cndmask_b32_e32 v3, v5, v3, vcc
	v_cmp_eq_u32_e32 vcc, s14, v19
	v_lshrrev_b32_e32 v8, 16, v8
	v_cndmask_b32_e32 v5, v18, v7, vcc
	v_and_or_b32 v3, v6, s15, v3
	v_add_u32_e32 v21, 0xfffffc10, v21
	v_and_or_b32 v5, v8, s15, v5
	v_and_b32_e32 v3, 0xffff, v3
	v_lshl_or_b32 v27, v21, 12, v9
	v_or_b32_e32 v20, v30, v20
	v_lshl_or_b32 v3, v5, 16, v3
	v_cmp_gt_i32_e32 vcc, 1, v21
	global_store_dword v[0:1], v3, off
	v_cndmask_b32_e32 v3, v27, v20, vcc
	v_and_b32_e32 v5, 7, v3
	v_cmp_lt_i32_e32 vcc, 5, v5
	v_cmp_eq_u32_e64 s[0:1], 3, v5
	v_lshrrev_b32_e32 v5, 2, v3
	v_cvt_f64_f32_e32 v[3:4], v4
	s_or_b64 vcc, s[0:1], vcc
	v_addc_co_u32_e32 v5, vcc, 0, v5, vcc
	v_mul_f64 v[3:4], v[3:4], s[12:13]
	v_cmp_gt_i32_e32 vcc, 31, v21
	v_cndmask_b32_e32 v5, v2, v5, vcc
	v_cmp_ne_u32_e32 vcc, 0, v9
	v_cndmask_b32_e64 v6, 0, 1, vcc
	v_lshl_or_b32 v6, v6, 9, v2
	v_cmp_eq_u32_e32 vcc, s14, v21
	v_cndmask_b32_e32 v5, v5, v6, vcc
	v_and_or_b32 v3, v4, s10, v3
	v_lshrrev_b32_e32 v6, 16, v10
	v_cmp_ne_u32_e32 vcc, 0, v3
	v_and_or_b32 v9, v6, s15, v5
	v_cndmask_b32_e64 v3, 0, 1, vcc
	v_lshrrev_b32_e32 v5, 8, v4
	v_bfe_u32 v6, v4, 20, 11
	v_and_or_b32 v3, v5, s11, v3
	v_sub_u32_e32 v7, 0x3f1, v6
	v_or_b32_e32 v5, 0x1000, v3
	v_med3_i32 v7, v7, 0, 13
	v_lshrrev_b32_e32 v8, v7, v5
	v_lshlrev_b32_e32 v7, v7, v8
	v_cmp_ne_u32_e32 vcc, v7, v5
	v_cndmask_b32_e64 v5, 0, 1, vcc
	v_add_u32_e32 v7, 0xfffffc10, v6
	v_or_b32_e32 v5, v8, v5
	v_lshl_or_b32 v6, v7, 12, v3
	v_cmp_gt_i32_e32 vcc, 1, v7
	v_cndmask_b32_e32 v5, v6, v5, vcc
	v_and_b32_e32 v6, 7, v5
	v_cmp_lt_i32_e32 vcc, 5, v6
	v_cmp_eq_u32_e64 s[0:1], 3, v6
	v_lshrrev_b32_e32 v5, 2, v5
	s_or_b64 vcc, s[0:1], vcc
	v_addc_co_u32_e32 v8, vcc, 0, v5, vcc
	v_add_u32_e32 v5, 0xa40, v35
	ds_read2_b32 v[5:6], v5 offset0:9 offset1:254
	v_cmp_gt_i32_e32 vcc, 31, v7
	v_cndmask_b32_e32 v8, v2, v8, vcc
	v_cmp_ne_u32_e32 vcc, 0, v3
	v_cndmask_b32_e64 v3, 0, 1, vcc
	s_waitcnt lgkmcnt(0)
	v_lshrrev_b32_e32 v10, 16, v5
	s_waitcnt vmcnt(2)
	v_mul_f16_sdwa v11, v10, v12 dst_sel:DWORD dst_unused:UNUSED_PAD src0_sel:DWORD src1_sel:WORD_1
	v_fma_f16 v11, v5, v12, v11
	v_cvt_f32_f16_e32 v11, v11
	v_lshl_or_b32 v3, v3, 9, v2
	v_cmp_eq_u32_e32 vcc, s14, v7
	v_cndmask_b32_e32 v3, v8, v3, vcc
	v_cvt_f64_f32_e32 v[7:8], v11
	v_lshrrev_b32_e32 v4, 16, v4
	v_and_or_b32 v11, v4, s15, v3
	v_and_b32_e32 v9, 0xffff, v9
	v_mul_f64 v[3:4], v[7:8], s[12:13]
	v_lshl_or_b32 v7, v11, 16, v9
	v_mov_b32_e32 v11, s7
	v_add_co_u32_e32 v0, vcc, s6, v0
	v_addc_co_u32_e32 v1, vcc, v1, v11, vcc
	global_store_dword v[0:1], v7, off
	v_and_or_b32 v3, v4, s10, v3
	v_cmp_ne_u32_e32 vcc, 0, v3
	v_cndmask_b32_e64 v3, 0, 1, vcc
	v_lshrrev_b32_e32 v7, 8, v4
	v_bfe_u32 v8, v4, 20, 11
	v_and_or_b32 v3, v7, s11, v3
	v_sub_u32_e32 v9, 0x3f1, v8
	v_or_b32_e32 v7, 0x1000, v3
	v_med3_i32 v9, v9, 0, 13
	v_lshrrev_b32_e32 v14, v9, v7
	v_lshlrev_b32_e32 v9, v9, v14
	v_mul_f16_sdwa v5, v5, v12 dst_sel:DWORD dst_unused:UNUSED_PAD src0_sel:DWORD src1_sel:WORD_1
	v_cmp_ne_u32_e32 vcc, v9, v7
	v_fma_f16 v5, v12, v10, -v5
	v_cndmask_b32_e64 v7, 0, 1, vcc
	v_add_u32_e32 v9, 0xfffffc10, v8
	v_cvt_f32_f16_e32 v5, v5
	v_or_b32_e32 v7, v14, v7
	v_lshl_or_b32 v8, v9, 12, v3
	v_cmp_gt_i32_e32 vcc, 1, v9
	v_cndmask_b32_e32 v7, v8, v7, vcc
	v_and_b32_e32 v8, 7, v7
	v_cmp_lt_i32_e32 vcc, 5, v8
	v_cmp_eq_u32_e64 s[0:1], 3, v8
	v_lshrrev_b32_e32 v10, 2, v7
	v_cvt_f64_f32_e32 v[7:8], v5
	s_or_b64 vcc, s[0:1], vcc
	v_addc_co_u32_e32 v5, vcc, 0, v10, vcc
	v_mul_f64 v[7:8], v[7:8], s[12:13]
	v_cmp_gt_i32_e32 vcc, 31, v9
	v_cndmask_b32_e32 v5, v2, v5, vcc
	v_cmp_ne_u32_e32 vcc, 0, v3
	v_cndmask_b32_e64 v3, 0, 1, vcc
	v_lshl_or_b32 v3, v3, 9, v2
	v_cmp_eq_u32_e32 vcc, s14, v9
	v_cndmask_b32_e32 v3, v5, v3, vcc
	v_lshrrev_b32_e32 v4, 16, v4
	v_and_or_b32 v5, v4, s15, v3
	v_and_or_b32 v3, v8, s10, v7
	v_cmp_ne_u32_e32 vcc, 0, v3
	v_cndmask_b32_e64 v3, 0, 1, vcc
	v_lshrrev_b32_e32 v4, 8, v8
	v_bfe_u32 v7, v8, 20, 11
	v_and_or_b32 v3, v4, s11, v3
	v_sub_u32_e32 v9, 0x3f1, v7
	v_or_b32_e32 v4, 0x1000, v3
	v_med3_i32 v9, v9, 0, 13
	v_lshrrev_b32_e32 v10, v9, v4
	v_lshlrev_b32_e32 v9, v9, v10
	v_cmp_ne_u32_e32 vcc, v9, v4
	v_cndmask_b32_e64 v4, 0, 1, vcc
	v_add_u32_e32 v7, 0xfffffc10, v7
	v_or_b32_e32 v4, v10, v4
	v_lshl_or_b32 v9, v7, 12, v3
	v_cmp_gt_i32_e32 vcc, 1, v7
	v_cndmask_b32_e32 v4, v9, v4, vcc
	v_and_b32_e32 v9, 7, v4
	v_cmp_lt_i32_e32 vcc, 5, v9
	v_cmp_eq_u32_e64 s[0:1], 3, v9
	v_lshrrev_b32_e32 v4, 2, v4
	s_or_b64 vcc, s[0:1], vcc
	v_addc_co_u32_e32 v4, vcc, 0, v4, vcc
	v_cmp_gt_i32_e32 vcc, 31, v7
	v_cndmask_b32_e32 v12, v2, v4, vcc
	v_cmp_ne_u32_e32 vcc, 0, v3
	v_cndmask_b32_e64 v3, 0, 1, vcc
	v_add_co_u32_e32 v9, vcc, s16, v16
	v_addc_co_u32_e32 v10, vcc, 0, v17, vcc
	global_load_dword v9, v[9:10], off offset:524
	v_lshrrev_b32_e32 v14, 16, v6
	s_waitcnt vmcnt(3)
	v_mul_f16_sdwa v4, v14, v13 dst_sel:DWORD dst_unused:UNUSED_PAD src0_sel:DWORD src1_sel:WORD_1
	v_fma_f16 v4, v6, v13, v4
	v_cvt_f32_f16_e32 v4, v4
	v_lshl_or_b32 v15, v3, 9, v2
	v_cmp_eq_u32_e32 vcc, s14, v7
	v_cndmask_b32_e32 v7, v12, v15, vcc
	v_cvt_f64_f32_e32 v[3:4], v4
	v_lshrrev_b32_e32 v8, 16, v8
	v_add_co_u32_e32 v0, vcc, s6, v0
	v_mul_f64 v[3:4], v[3:4], s[12:13]
	v_and_or_b32 v7, v8, s15, v7
	v_and_b32_e32 v5, 0xffff, v5
	v_addc_co_u32_e32 v1, vcc, v1, v11, vcc
	v_lshl_or_b32 v5, v7, 16, v5
	global_store_dword v[0:1], v5, off
	v_mul_f16_sdwa v6, v6, v13 dst_sel:DWORD dst_unused:UNUSED_PAD src0_sel:DWORD src1_sel:WORD_1
	v_and_or_b32 v3, v4, s10, v3
	v_cmp_ne_u32_e32 vcc, 0, v3
	v_cndmask_b32_e64 v3, 0, 1, vcc
	v_lshrrev_b32_e32 v5, 8, v4
	v_bfe_u32 v7, v4, 20, 11
	v_and_or_b32 v3, v5, s11, v3
	v_sub_u32_e32 v8, 0x3f1, v7
	v_or_b32_e32 v5, 0x1000, v3
	v_med3_i32 v8, v8, 0, 13
	v_lshrrev_b32_e32 v10, v8, v5
	v_lshlrev_b32_e32 v8, v8, v10
	v_cmp_ne_u32_e32 vcc, v8, v5
	v_fma_f16 v6, v13, v14, -v6
	v_cndmask_b32_e64 v5, 0, 1, vcc
	v_add_u32_e32 v7, 0xfffffc10, v7
	v_cvt_f32_f16_e32 v6, v6
	v_or_b32_e32 v5, v10, v5
	v_lshl_or_b32 v8, v7, 12, v3
	v_cmp_gt_i32_e32 vcc, 1, v7
	v_cndmask_b32_e32 v5, v8, v5, vcc
	v_and_b32_e32 v8, 7, v5
	v_cmp_lt_i32_e32 vcc, 5, v8
	v_cmp_eq_u32_e64 s[0:1], 3, v8
	v_lshrrev_b32_e32 v8, 2, v5
	v_cvt_f64_f32_e32 v[5:6], v6
	s_or_b64 vcc, s[0:1], vcc
	v_addc_co_u32_e32 v8, vcc, 0, v8, vcc
	v_mul_f64 v[5:6], v[5:6], s[12:13]
	v_cmp_gt_i32_e32 vcc, 31, v7
	v_cndmask_b32_e32 v8, v2, v8, vcc
	v_cmp_ne_u32_e32 vcc, 0, v3
	v_cndmask_b32_e64 v3, 0, 1, vcc
	v_lshl_or_b32 v3, v3, 9, v2
	v_cmp_eq_u32_e32 vcc, s14, v7
	v_cndmask_b32_e32 v3, v8, v3, vcc
	v_lshrrev_b32_e32 v4, 16, v4
	v_and_or_b32 v7, v4, s15, v3
	v_and_or_b32 v3, v6, s10, v5
	v_cmp_ne_u32_e32 vcc, 0, v3
	v_cndmask_b32_e64 v3, 0, 1, vcc
	v_lshrrev_b32_e32 v4, 8, v6
	v_bfe_u32 v5, v6, 20, 11
	v_and_or_b32 v3, v4, s11, v3
	v_sub_u32_e32 v8, 0x3f1, v5
	v_or_b32_e32 v4, 0x1000, v3
	v_med3_i32 v8, v8, 0, 13
	v_lshrrev_b32_e32 v10, v8, v4
	v_lshlrev_b32_e32 v8, v8, v10
	v_cmp_ne_u32_e32 vcc, v8, v4
	v_cndmask_b32_e64 v4, 0, 1, vcc
	v_add_u32_e32 v5, 0xfffffc10, v5
	v_or_b32_e32 v4, v10, v4
	v_lshl_or_b32 v8, v5, 12, v3
	v_cmp_gt_i32_e32 vcc, 1, v5
	v_cndmask_b32_e32 v4, v8, v4, vcc
	v_and_b32_e32 v8, 7, v4
	v_cmp_lt_i32_e32 vcc, 5, v8
	v_cmp_eq_u32_e64 s[0:1], 3, v8
	ds_read_b32 v8, v35 offset:4620
	v_lshrrev_b32_e32 v4, 2, v4
	s_or_b64 vcc, s[0:1], vcc
	v_addc_co_u32_e32 v4, vcc, 0, v4, vcc
	v_cmp_gt_i32_e32 vcc, 31, v5
	s_waitcnt lgkmcnt(0)
	v_lshrrev_b32_e32 v12, 16, v8
	v_cndmask_b32_e32 v10, v2, v4, vcc
	s_waitcnt vmcnt(1)
	v_mul_f16_sdwa v4, v12, v9 dst_sel:DWORD dst_unused:UNUSED_PAD src0_sel:DWORD src1_sel:WORD_1
	v_fma_f16 v4, v8, v9, v4
	v_cvt_f32_f16_e32 v4, v4
	v_cmp_ne_u32_e32 vcc, 0, v3
	v_cndmask_b32_e64 v3, 0, 1, vcc
	v_lshl_or_b32 v13, v3, 9, v2
	v_cvt_f64_f32_e32 v[3:4], v4
	v_cmp_eq_u32_e32 vcc, s14, v5
	v_cndmask_b32_e32 v5, v10, v13, vcc
	v_lshrrev_b32_e32 v6, 16, v6
	v_mul_f64 v[3:4], v[3:4], s[12:13]
	v_add_co_u32_e32 v0, vcc, s6, v0
	v_and_or_b32 v5, v6, s15, v5
	v_and_b32_e32 v6, 0xffff, v7
	v_addc_co_u32_e32 v1, vcc, v1, v11, vcc
	v_lshl_or_b32 v5, v5, 16, v6
	v_and_or_b32 v3, v4, s10, v3
	v_cmp_ne_u32_e32 vcc, 0, v3
	global_store_dword v[0:1], v5, off
	v_cndmask_b32_e64 v3, 0, 1, vcc
	v_lshrrev_b32_e32 v5, 8, v4
	v_bfe_u32 v6, v4, 20, 11
	v_and_or_b32 v3, v5, s11, v3
	v_sub_u32_e32 v7, 0x3f1, v6
	v_or_b32_e32 v5, 0x1000, v3
	v_med3_i32 v7, v7, 0, 13
	v_lshrrev_b32_e32 v10, v7, v5
	v_lshlrev_b32_e32 v7, v7, v10
	v_mul_f16_sdwa v8, v8, v9 dst_sel:DWORD dst_unused:UNUSED_PAD src0_sel:DWORD src1_sel:WORD_1
	v_cmp_ne_u32_e32 vcc, v7, v5
	v_fma_f16 v8, v9, v12, -v8
	v_cndmask_b32_e64 v5, 0, 1, vcc
	v_add_u32_e32 v7, 0xfffffc10, v6
	v_cvt_f32_f16_e32 v8, v8
	v_or_b32_e32 v5, v10, v5
	v_lshl_or_b32 v6, v7, 12, v3
	v_cmp_gt_i32_e32 vcc, 1, v7
	v_cndmask_b32_e32 v5, v6, v5, vcc
	v_and_b32_e32 v6, 7, v5
	v_cmp_lt_i32_e32 vcc, 5, v6
	v_cmp_eq_u32_e64 s[0:1], 3, v6
	v_lshrrev_b32_e32 v9, 2, v5
	v_cvt_f64_f32_e32 v[5:6], v8
	s_or_b64 vcc, s[0:1], vcc
	v_addc_co_u32_e32 v8, vcc, 0, v9, vcc
	v_mul_f64 v[5:6], v[5:6], s[12:13]
	v_cmp_gt_i32_e32 vcc, 31, v7
	v_cndmask_b32_e32 v8, v2, v8, vcc
	v_cmp_ne_u32_e32 vcc, 0, v3
	v_cndmask_b32_e64 v3, 0, 1, vcc
	v_lshl_or_b32 v3, v3, 9, v2
	v_cmp_eq_u32_e32 vcc, s14, v7
	v_cndmask_b32_e32 v3, v8, v3, vcc
	v_lshrrev_b32_e32 v4, 16, v4
	v_and_or_b32 v3, v4, s15, v3
	v_and_or_b32 v4, v6, s10, v5
	v_cmp_ne_u32_e32 vcc, 0, v4
	v_cndmask_b32_e64 v4, 0, 1, vcc
	v_lshrrev_b32_e32 v5, 8, v6
	v_bfe_u32 v7, v6, 20, 11
	v_and_or_b32 v4, v5, s11, v4
	v_sub_u32_e32 v8, 0x3f1, v7
	v_or_b32_e32 v5, 0x1000, v4
	v_med3_i32 v8, v8, 0, 13
	v_lshrrev_b32_e32 v9, v8, v5
	v_lshlrev_b32_e32 v8, v8, v9
	v_cmp_ne_u32_e32 vcc, v8, v5
	v_cndmask_b32_e64 v5, 0, 1, vcc
	v_add_u32_e32 v7, 0xfffffc10, v7
	v_or_b32_e32 v5, v9, v5
	v_lshl_or_b32 v8, v7, 12, v4
	v_cmp_gt_i32_e32 vcc, 1, v7
	v_cndmask_b32_e32 v5, v8, v5, vcc
	v_and_b32_e32 v8, 7, v5
	v_cmp_lt_i32_e32 vcc, 5, v8
	v_cmp_eq_u32_e64 s[0:1], 3, v8
	v_lshrrev_b32_e32 v5, 2, v5
	s_or_b64 vcc, s[0:1], vcc
	v_addc_co_u32_e32 v5, vcc, 0, v5, vcc
	v_cmp_gt_i32_e32 vcc, 31, v7
	v_cndmask_b32_e32 v5, v2, v5, vcc
	v_cmp_ne_u32_e32 vcc, 0, v4
	v_cndmask_b32_e64 v4, 0, 1, vcc
	v_lshl_or_b32 v2, v4, 9, v2
	v_cmp_eq_u32_e32 vcc, s14, v7
	v_cndmask_b32_e32 v2, v5, v2, vcc
	v_lshrrev_b32_e32 v4, 16, v6
	v_and_or_b32 v2, v4, s15, v2
	v_and_b32_e32 v3, 0xffff, v3
	v_add_co_u32_e32 v0, vcc, s6, v0
	v_lshl_or_b32 v2, v2, 16, v3
	v_addc_co_u32_e32 v1, vcc, v1, v11, vcc
	global_store_dword v[0:1], v2, off
.LBB0_23:
	s_endpgm
	.section	.rodata,"a",@progbits
	.p2align	6, 0x0
	.amdhsa_kernel bluestein_single_fwd_len1225_dim1_half_op_CI_CI
		.amdhsa_group_segment_fixed_size 4900
		.amdhsa_private_segment_fixed_size 0
		.amdhsa_kernarg_size 104
		.amdhsa_user_sgpr_count 6
		.amdhsa_user_sgpr_private_segment_buffer 1
		.amdhsa_user_sgpr_dispatch_ptr 0
		.amdhsa_user_sgpr_queue_ptr 0
		.amdhsa_user_sgpr_kernarg_segment_ptr 1
		.amdhsa_user_sgpr_dispatch_id 0
		.amdhsa_user_sgpr_flat_scratch_init 0
		.amdhsa_user_sgpr_private_segment_size 0
		.amdhsa_uses_dynamic_stack 0
		.amdhsa_system_sgpr_private_segment_wavefront_offset 0
		.amdhsa_system_sgpr_workgroup_id_x 1
		.amdhsa_system_sgpr_workgroup_id_y 0
		.amdhsa_system_sgpr_workgroup_id_z 0
		.amdhsa_system_sgpr_workgroup_info 0
		.amdhsa_system_vgpr_workitem_id 0
		.amdhsa_next_free_vgpr 71
		.amdhsa_next_free_sgpr 22
		.amdhsa_reserve_vcc 1
		.amdhsa_reserve_flat_scratch 0
		.amdhsa_float_round_mode_32 0
		.amdhsa_float_round_mode_16_64 0
		.amdhsa_float_denorm_mode_32 3
		.amdhsa_float_denorm_mode_16_64 3
		.amdhsa_dx10_clamp 1
		.amdhsa_ieee_mode 1
		.amdhsa_fp16_overflow 0
		.amdhsa_exception_fp_ieee_invalid_op 0
		.amdhsa_exception_fp_denorm_src 0
		.amdhsa_exception_fp_ieee_div_zero 0
		.amdhsa_exception_fp_ieee_overflow 0
		.amdhsa_exception_fp_ieee_underflow 0
		.amdhsa_exception_fp_ieee_inexact 0
		.amdhsa_exception_int_div_zero 0
	.end_amdhsa_kernel
	.text
.Lfunc_end0:
	.size	bluestein_single_fwd_len1225_dim1_half_op_CI_CI, .Lfunc_end0-bluestein_single_fwd_len1225_dim1_half_op_CI_CI
                                        ; -- End function
	.section	.AMDGPU.csdata,"",@progbits
; Kernel info:
; codeLenInByte = 14804
; NumSgprs: 26
; NumVgprs: 71
; ScratchSize: 0
; MemoryBound: 0
; FloatMode: 240
; IeeeMode: 1
; LDSByteSize: 4900 bytes/workgroup (compile time only)
; SGPRBlocks: 3
; VGPRBlocks: 17
; NumSGPRsForWavesPerEU: 26
; NumVGPRsForWavesPerEU: 71
; Occupancy: 3
; WaveLimiterHint : 1
; COMPUTE_PGM_RSRC2:SCRATCH_EN: 0
; COMPUTE_PGM_RSRC2:USER_SGPR: 6
; COMPUTE_PGM_RSRC2:TRAP_HANDLER: 0
; COMPUTE_PGM_RSRC2:TGID_X_EN: 1
; COMPUTE_PGM_RSRC2:TGID_Y_EN: 0
; COMPUTE_PGM_RSRC2:TGID_Z_EN: 0
; COMPUTE_PGM_RSRC2:TIDIG_COMP_CNT: 0
	.type	__hip_cuid_afceae78cf2dfc12,@object ; @__hip_cuid_afceae78cf2dfc12
	.section	.bss,"aw",@nobits
	.globl	__hip_cuid_afceae78cf2dfc12
__hip_cuid_afceae78cf2dfc12:
	.byte	0                               ; 0x0
	.size	__hip_cuid_afceae78cf2dfc12, 1

	.ident	"AMD clang version 19.0.0git (https://github.com/RadeonOpenCompute/llvm-project roc-6.4.0 25133 c7fe45cf4b819c5991fe208aaa96edf142730f1d)"
	.section	".note.GNU-stack","",@progbits
	.addrsig
	.addrsig_sym __hip_cuid_afceae78cf2dfc12
	.amdgpu_metadata
---
amdhsa.kernels:
  - .args:
      - .actual_access:  read_only
        .address_space:  global
        .offset:         0
        .size:           8
        .value_kind:     global_buffer
      - .actual_access:  read_only
        .address_space:  global
        .offset:         8
        .size:           8
        .value_kind:     global_buffer
      - .actual_access:  read_only
        .address_space:  global
        .offset:         16
        .size:           8
        .value_kind:     global_buffer
      - .actual_access:  read_only
        .address_space:  global
        .offset:         24
        .size:           8
        .value_kind:     global_buffer
      - .actual_access:  read_only
        .address_space:  global
        .offset:         32
        .size:           8
        .value_kind:     global_buffer
      - .offset:         40
        .size:           8
        .value_kind:     by_value
      - .address_space:  global
        .offset:         48
        .size:           8
        .value_kind:     global_buffer
      - .address_space:  global
        .offset:         56
        .size:           8
        .value_kind:     global_buffer
      - .address_space:  global
        .offset:         64
        .size:           8
        .value_kind:     global_buffer
      - .address_space:  global
        .offset:         72
        .size:           8
        .value_kind:     global_buffer
      - .offset:         80
        .size:           4
        .value_kind:     by_value
      - .address_space:  global
        .offset:         88
        .size:           8
        .value_kind:     global_buffer
      - .address_space:  global
        .offset:         96
        .size:           8
        .value_kind:     global_buffer
    .group_segment_fixed_size: 4900
    .kernarg_segment_align: 8
    .kernarg_segment_size: 104
    .language:       OpenCL C
    .language_version:
      - 2
      - 0
    .max_flat_workgroup_size: 175
    .name:           bluestein_single_fwd_len1225_dim1_half_op_CI_CI
    .private_segment_fixed_size: 0
    .sgpr_count:     26
    .sgpr_spill_count: 0
    .symbol:         bluestein_single_fwd_len1225_dim1_half_op_CI_CI.kd
    .uniform_work_group_size: 1
    .uses_dynamic_stack: false
    .vgpr_count:     71
    .vgpr_spill_count: 0
    .wavefront_size: 64
amdhsa.target:   amdgcn-amd-amdhsa--gfx906
amdhsa.version:
  - 1
  - 2
...

	.end_amdgpu_metadata
